;; amdgpu-corpus repo=ROCm/rocFFT kind=compiled arch=gfx950 opt=O3
	.text
	.amdgcn_target "amdgcn-amd-amdhsa--gfx950"
	.amdhsa_code_object_version 6
	.protected	bluestein_single_fwd_len91_dim1_dp_op_CI_CI ; -- Begin function bluestein_single_fwd_len91_dim1_dp_op_CI_CI
	.globl	bluestein_single_fwd_len91_dim1_dp_op_CI_CI
	.p2align	8
	.type	bluestein_single_fwd_len91_dim1_dp_op_CI_CI,@function
bluestein_single_fwd_len91_dim1_dp_op_CI_CI: ; @bluestein_single_fwd_len91_dim1_dp_op_CI_CI
; %bb.0:
	s_load_dwordx4 s[16:19], s[0:1], 0x28
	v_mul_u32_u24_e32 v1, 0x13b2, v0
	v_lshrrev_b32_e32 v2, 16, v1
	v_mad_u64_u32 v[128:129], s[2:3], s2, 19, v[2:3]
	v_mov_b32_e32 v131, 0
	v_mov_b32_e32 v129, v131
	s_waitcnt lgkmcnt(0)
	v_cmp_gt_u64_e32 vcc, s[16:17], v[128:129]
	s_and_saveexec_b64 s[2:3], vcc
	s_cbranch_execz .LBB0_10
; %bb.1:
	s_load_dwordx4 s[8:11], s[0:1], 0x18
	s_load_dwordx4 s[4:7], s[0:1], 0x0
	v_mul_lo_u16_e32 v1, 13, v2
	v_sub_u16_e32 v6, v0, v1
	v_mov_b32_e32 v4, s18
	s_waitcnt lgkmcnt(0)
	s_load_dwordx4 s[12:15], s[8:9], 0x0
	v_mov_b32_e32 v5, s19
	v_mov_b32_e32 v7, 0xd0
	v_lshlrev_b32_e32 v130, 4, v6
	global_load_dwordx4 v[24:27], v130, s[4:5]
	s_waitcnt lgkmcnt(0)
	v_mad_u64_u32 v[0:1], s[2:3], s14, v128, 0
	v_mov_b32_e32 v2, v1
	v_mad_u64_u32 v[2:3], s[2:3], s15, v128, v[2:3]
	v_mov_b32_e32 v1, v2
	;; [unrolled: 2-line block ×4, first 2 shown]
	v_lshl_add_u64 v[0:1], v[0:1], 4, v[4:5]
	v_lshl_add_u64 v[4:5], v[2:3], 4, v[0:1]
	global_load_dwordx4 v[0:3], v[4:5], off
	v_mad_u64_u32 v[4:5], s[2:3], s12, v7, v[4:5]
	s_mul_i32 s8, s13, 0xd0
	v_add_u32_e32 v5, s8, v5
	global_load_dwordx4 v[16:19], v130, s[4:5] offset:208
	global_load_dwordx4 v[28:31], v[4:5], off
	v_mad_u64_u32 v[4:5], s[2:3], s12, v7, v[4:5]
	v_add_u32_e32 v5, s8, v5
	global_load_dwordx4 v[32:35], v[4:5], off
	global_load_dwordx4 v[8:11], v130, s[4:5] offset:416
	v_mad_u64_u32 v[4:5], s[2:3], s12, v7, v[4:5]
	v_add_u32_e32 v5, s8, v5
	global_load_dwordx4 v[20:23], v130, s[4:5] offset:624
	global_load_dwordx4 v[36:39], v[4:5], off
	v_mad_u64_u32 v[4:5], s[2:3], s12, v7, v[4:5]
	v_add_u32_e32 v5, s8, v5
	global_load_dwordx4 v[40:43], v[4:5], off
	global_load_dwordx4 v[12:15], v130, s[4:5] offset:832
	v_mad_u64_u32 v[4:5], s[2:3], s12, v7, v[4:5]
	v_add_u32_e32 v5, s8, v5
	global_load_dwordx4 v[44:47], v[4:5], off
	global_load_dwordx4 v[56:59], v130, s[4:5] offset:1040
	v_mad_u64_u32 v[4:5], s[2:3], s12, v7, v[4:5]
	v_add_u32_e32 v5, s8, v5
	global_load_dwordx4 v[60:63], v130, s[4:5] offset:1248
	global_load_dwordx4 v[48:51], v[4:5], off
	s_load_dwordx2 s[8:9], s[0:1], 0x38
	s_mov_b32 s0, 0xaf286bcb
	v_mul_hi_u32 v4, v128, s0
	v_sub_u32_e32 v5, v128, v4
	v_lshrrev_b32_e32 v5, 1, v5
	v_add_u32_e32 v4, v5, v4
	v_lshrrev_b32_e32 v4, 4, v4
	v_mul_lo_u32 v4, v4, 19
	v_sub_u32_e32 v4, v128, v4
	v_mul_u32_u24_e32 v4, 0x5b, v4
	v_lshlrev_b32_e32 v66, 4, v4
	v_add_u32_e32 v7, v130, v66
	s_load_dwordx4 s[0:3], s[10:11], 0x0
	s_mov_b32 s10, 0x37e14327
	s_mov_b32 s11, 0x3fe948f6
	;; [unrolled: 1-line block ×6, first 2 shown]
	v_accvgpr_write_b32 a16, v66
	v_cmp_gt_u16_e32 vcc, 7, v6
                                        ; implicit-def: $vgpr104_vgpr105
                                        ; implicit-def: $vgpr108_vgpr109
                                        ; implicit-def: $vgpr112_vgpr113
                                        ; implicit-def: $vgpr116_vgpr117
                                        ; implicit-def: $vgpr120_vgpr121
                                        ; implicit-def: $vgpr124_vgpr125
	s_waitcnt vmcnt(12)
	v_mul_f64 v[52:53], v[2:3], v[26:27]
	v_mul_f64 v[4:5], v[0:1], v[26:27]
	v_fmac_f64_e32 v[52:53], v[0:1], v[24:25]
	v_fma_f64 v[54:55], v[2:3], v[24:25], -v[4:5]
	ds_write_b128 v7, v[52:55]
	s_waitcnt vmcnt(10)
	v_mul_f64 v[0:1], v[30:31], v[18:19]
	v_mul_f64 v[2:3], v[28:29], v[18:19]
	v_fmac_f64_e32 v[0:1], v[28:29], v[16:17]
	v_fma_f64 v[2:3], v[30:31], v[16:17], -v[2:3]
	ds_write_b128 v7, v[0:3] offset:208
	s_waitcnt vmcnt(8)
	v_mul_f64 v[0:1], v[34:35], v[10:11]
	v_mul_f64 v[2:3], v[32:33], v[10:11]
	v_fmac_f64_e32 v[0:1], v[32:33], v[8:9]
	v_fma_f64 v[2:3], v[34:35], v[8:9], -v[2:3]
	ds_write_b128 v7, v[0:3] offset:416
	;; [unrolled: 6-line block ×6, first 2 shown]
	s_waitcnt lgkmcnt(0)
	s_barrier
	ds_read_b128 v[0:3], v7
	ds_read_b128 v[28:31], v7 offset:208
	ds_read_b128 v[32:35], v7 offset:1248
	;; [unrolled: 1-line block ×6, first 2 shown]
	s_waitcnt lgkmcnt(4)
	v_add_f64 v[4:5], v[28:29], v[32:33]
	v_add_f64 v[52:53], v[30:31], v[34:35]
	v_add_f64 v[28:29], v[28:29], -v[32:33]
	v_add_f64 v[30:31], v[30:31], -v[34:35]
	s_waitcnt lgkmcnt(0)
	v_add_f64 v[32:33], v[36:37], v[48:49]
	v_add_f64 v[34:35], v[38:39], v[50:51]
	v_accvgpr_write_b32 a8, v56
	v_add_f64 v[36:37], v[36:37], -v[48:49]
	v_add_f64 v[38:39], v[38:39], -v[50:51]
	v_add_f64 v[48:49], v[40:41], v[44:45]
	v_add_f64 v[50:51], v[42:43], v[46:47]
	v_add_f64 v[40:41], v[44:45], -v[40:41]
	v_add_f64 v[42:43], v[46:47], -v[42:43]
	v_add_f64 v[44:45], v[32:33], v[4:5]
	v_add_f64 v[46:47], v[34:35], v[52:53]
	v_accvgpr_write_b32 a9, v57
	v_accvgpr_write_b32 a10, v58
	;; [unrolled: 1-line block ×3, first 2 shown]
	v_add_f64 v[54:55], v[32:33], -v[4:5]
	v_add_f64 v[56:57], v[34:35], -v[52:53]
	v_add_f64 v[4:5], v[4:5], -v[48:49]
	v_add_f64 v[52:53], v[52:53], -v[50:51]
	v_add_f64 v[44:45], v[48:49], v[44:45]
	v_add_f64 v[46:47], v[50:51], v[46:47]
	v_add_f64 v[76:77], v[0:1], v[44:45]
	v_add_f64 v[78:79], v[2:3], v[46:47]
	v_mul_f64 v[0:1], v[4:5], s[10:11]
	v_mul_f64 v[2:3], v[52:53], s[10:11]
	s_mov_b32 s10, 0x36b3c0b5
	v_accvgpr_write_b32 a12, v60
	v_add_f64 v[32:33], v[48:49], -v[32:33]
	v_add_f64 v[34:35], v[50:51], -v[34:35]
	s_mov_b32 s11, 0x3fac98ee
	v_accvgpr_write_b32 a13, v61
	v_accvgpr_write_b32 a14, v62
	;; [unrolled: 1-line block ×3, first 2 shown]
	v_add_f64 v[62:63], v[40:41], -v[36:37]
	v_add_f64 v[64:65], v[42:43], -v[38:39]
	v_mul_f64 v[4:5], v[32:33], s[10:11]
	v_mul_f64 v[48:49], v[34:35], s[10:11]
	v_fma_f64 v[44:45], s[14:15], v[44:45], v[76:77]
	v_fma_f64 v[46:47], s[14:15], v[46:47], v[78:79]
	s_mov_b32 s15, 0x3fe77f67
	s_mov_b32 s14, 0x5476071b
	v_mul_f64 v[50:51], v[62:63], s[12:13]
	v_mul_f64 v[52:53], v[64:65], s[12:13]
	s_mov_b32 s12, 0x429ad128
	v_fma_f64 v[4:5], v[54:55], s[14:15], -v[4:5]
	v_fma_f64 v[48:49], v[56:57], s[14:15], -v[48:49]
	s_mov_b32 s15, 0xbfe77f67
	v_add_f64 v[58:59], v[40:41], v[36:37]
	v_add_f64 v[60:61], v[42:43], v[38:39]
	v_add_f64 v[40:41], v[28:29], -v[40:41]
	v_add_f64 v[42:43], v[30:31], -v[42:43]
	;; [unrolled: 1-line block ×4, first 2 shown]
	s_mov_b32 s13, 0x3febfeb5
	v_fma_f64 v[32:33], s[10:11], v[32:33], v[0:1]
	v_fma_f64 v[0:1], v[54:55], s[14:15], -v[0:1]
	v_fma_f64 v[54:55], v[56:57], s[14:15], -v[2:3]
	v_fmac_f64_e32 v[2:3], s[10:11], v[34:35]
	s_mov_b32 s11, 0x3fd5d0dc
	s_mov_b32 s10, 0xb247c609
	v_add_f64 v[28:29], v[58:59], v[28:29]
	v_add_f64 v[30:31], v[60:61], v[30:31]
	v_mul_f64 v[58:59], v[36:37], s[12:13]
	v_mul_f64 v[60:61], v[38:39], s[12:13]
	v_fma_f64 v[34:35], s[10:11], v[40:41], v[50:51]
	v_fma_f64 v[38:39], v[38:39], s[12:13], -v[52:53]
	v_fmac_f64_e32 v[52:53], s[10:11], v[42:43]
	s_mov_b32 s11, 0xbfd5d0dc
	v_fma_f64 v[40:41], v[40:41], s[10:11], -v[58:59]
	v_fma_f64 v[42:43], v[42:43], s[10:11], -v[60:61]
	s_mov_b32 s10, 0x37c3f68c
	s_mov_b32 s11, 0x3fdc38aa
	v_fma_f64 v[36:37], v[36:37], s[12:13], -v[50:51]
	v_add_f64 v[0:1], v[0:1], v[44:45]
	v_fmac_f64_e32 v[42:43], s[10:11], v[30:31]
	v_accvgpr_write_b32 a0, v8
	v_accvgpr_write_b32 a4, v12
	v_add_f64 v[32:33], v[32:33], v[44:45]
	v_add_f64 v[2:3], v[2:3], v[46:47]
	;; [unrolled: 1-line block ×5, first 2 shown]
	v_fmac_f64_e32 v[34:35], s[10:11], v[28:29]
	v_fmac_f64_e32 v[52:53], s[10:11], v[30:31]
	;; [unrolled: 1-line block ×5, first 2 shown]
	v_add_f64 v[84:85], v[0:1], v[42:43]
	v_add_f64 v[96:97], v[0:1], -v[42:43]
	v_mul_lo_u16_e32 v0, 7, v6
	v_accvgpr_write_b32 a1, v9
	v_accvgpr_write_b32 a2, v10
	;; [unrolled: 1-line block ×6, first 2 shown]
	v_add_f64 v[80:81], v[32:33], v[52:53]
	v_add_f64 v[82:83], v[2:3], -v[34:35]
	v_add_f64 v[86:87], v[44:45], -v[40:41]
	;; [unrolled: 1-line block ×3, first 2 shown]
	v_add_f64 v[90:91], v[36:37], v[48:49]
	v_add_f64 v[92:93], v[4:5], v[38:39]
	v_add_f64 v[94:95], v[48:49], -v[36:37]
	v_add_f64 v[98:99], v[40:41], v[44:45]
	v_add_f64 v[100:101], v[32:33], -v[52:53]
	v_add_f64 v[102:103], v[34:35], v[2:3]
	v_lshl_add_u32 v129, v0, 4, v66
	s_barrier
	ds_write_b128 v129, v[76:79]
	ds_write_b128 v129, v[80:83] offset:16
	ds_write_b128 v129, v[84:87] offset:32
	;; [unrolled: 1-line block ×6, first 2 shown]
	s_waitcnt lgkmcnt(0)
	s_barrier
	s_and_saveexec_b64 s[10:11], vcc
	s_cbranch_execz .LBB0_3
; %bb.2:
	ds_read_b128 v[76:79], v7
	ds_read_b128 v[80:83], v7 offset:112
	ds_read_b128 v[84:87], v7 offset:224
	;; [unrolled: 1-line block ×12, first 2 shown]
.LBB0_3:
	s_or_b64 exec, exec, s[10:11]
	v_add_u32_e32 v0, -7, v6
	v_cndmask_b32_e32 v0, v0, v6, vcc
	v_mul_hi_i32_i24_e32 v1, 12, v0
	v_mul_i32_i24_e32 v0, 12, v0
	v_lshl_add_u64 v[0:1], v[0:1], 4, s[6:7]
	global_load_dwordx4 v[28:31], v[0:1], off
	global_load_dwordx4 v[32:35], v[0:1], off offset:16
	global_load_dwordx4 v[36:39], v[0:1], off offset:32
	;; [unrolled: 1-line block ×11, first 2 shown]
	s_mov_b32 s15, 0xbfddbe06
	s_mov_b32 s14, 0x4267c47c
	;; [unrolled: 1-line block ×30, first 2 shown]
	s_waitcnt vmcnt(11) lgkmcnt(11)
	v_mul_f64 v[0:1], v[82:83], v[30:31]
	v_mul_f64 v[132:133], v[80:81], v[30:31]
	s_waitcnt vmcnt(10) lgkmcnt(10)
	v_mul_f64 v[2:3], v[86:87], v[34:35]
	v_mul_f64 v[134:135], v[84:85], v[34:35]
	s_waitcnt vmcnt(9) lgkmcnt(9)
	v_mul_f64 v[4:5], v[90:91], v[38:39]
	s_waitcnt vmcnt(6) lgkmcnt(6)
	v_mul_f64 v[158:159], v[102:103], v[54:55]
	v_fma_f64 v[0:1], v[80:81], v[28:29], -v[0:1]
	v_fmac_f64_e32 v[132:133], v[82:83], v[28:29]
	v_mul_f64 v[136:137], v[88:89], v[38:39]
	v_mul_f64 v[142:143], v[100:101], v[54:55]
	s_waitcnt vmcnt(1) lgkmcnt(1)
	v_mul_f64 v[170:171], v[122:123], v[62:63]
	s_waitcnt vmcnt(0) lgkmcnt(0)
	v_mul_f64 v[160:161], v[124:125], v[58:59]
	v_mul_f64 v[156:157], v[120:121], v[62:63]
	;; [unrolled: 1-line block ×3, first 2 shown]
	v_fmac_f64_e32 v[160:161], v[126:127], v[56:57]
	v_mul_f64 v[162:163], v[106:107], v[50:51]
	v_fma_f64 v[2:3], v[84:85], v[32:33], -v[2:3]
	v_fmac_f64_e32 v[134:135], v[86:87], v[32:33]
	v_fma_f64 v[8:9], v[88:89], v[36:37], -v[4:5]
	v_fma_f64 v[14:15], v[100:101], v[52:53], -v[158:159]
	;; [unrolled: 1-line block ×3, first 2 shown]
	v_fmac_f64_e32 v[156:157], v[122:123], v[60:61]
	v_fma_f64 v[88:89], v[124:125], v[56:57], -v[172:173]
	v_add_f64 v[100:101], v[132:133], -v[160:161]
	v_accvgpr_write_b32 a19, v1
	v_mul_f64 v[144:145], v[104:105], v[50:51]
	v_fmac_f64_e32 v[142:143], v[102:103], v[52:53]
	v_fma_f64 v[82:83], v[104:105], v[48:49], -v[162:163]
	v_add_f64 v[172:173], v[0:1], v[88:89]
	v_add_f64 v[102:103], v[134:135], -v[156:157]
	v_accvgpr_write_b32 a18, v0
	v_add_f64 v[104:105], v[0:1], -v[88:89]
	v_accvgpr_write_b32 a21, v3
	v_accvgpr_write_b32 a39, v5
	v_mul_f64 v[0:1], v[100:101], s[14:15]
	v_fmac_f64_e32 v[144:145], v[106:107], v[48:49]
	v_add_f64 v[178:179], v[2:3], v[4:5]
	v_accvgpr_write_b32 a20, v2
	v_accvgpr_write_b32 a38, v4
	v_add_f64 v[106:107], v[2:3], -v[4:5]
	v_mul_f64 v[2:3], v[102:103], s[20:21]
	v_mul_f64 v[4:5], v[104:105], s[14:15]
	v_accvgpr_write_b32 a43, v1
	v_mul_f64 v[152:153], v[116:117], v[74:75]
	v_add_f64 v[186:187], v[132:133], v[160:161]
	v_accvgpr_write_b32 a40, v88
	v_accvgpr_write_b32 a42, v0
	v_fma_f64 v[0:1], s[6:7], v[172:173], v[0:1]
	v_accvgpr_write_b32 a45, v3
	v_accvgpr_write_b32 a47, v5
	v_fmac_f64_e32 v[136:137], v[90:91], v[36:37]
	v_fmac_f64_e32 v[152:153], v[118:119], v[72:73]
	v_accvgpr_write_b32 a41, v89
	v_add_f64 v[182:183], v[134:135], v[156:157]
	v_mul_f64 v[88:89], v[106:107], s[20:21]
	v_accvgpr_write_b32 a44, v2
	v_fma_f64 v[2:3], s[10:11], v[178:179], v[2:3]
	v_accvgpr_write_b32 a46, v4
	v_fma_f64 v[4:5], v[186:187], s[6:7], -v[4:5]
	v_add_f64 v[0:1], v[76:77], v[0:1]
	v_mul_f64 v[168:169], v[118:119], v[74:75]
	v_add_f64 v[4:5], v[78:79], v[4:5]
	v_add_f64 v[0:1], v[2:3], v[0:1]
	v_fma_f64 v[2:3], v[182:183], s[10:11], -v[88:89]
	v_add_f64 v[212:213], v[136:137], -v[152:153]
	v_fma_f64 v[86:87], v[116:117], v[72:73], -v[168:169]
	v_add_f64 v[2:3], v[2:3], v[4:5]
	v_mul_f64 v[4:5], v[212:213], s[26:27]
	v_mul_f64 v[164:165], v[110:111], v[66:67]
	v_add_f64 v[188:189], v[8:9], v[86:87]
	v_accvgpr_write_b32 a51, v5
	v_fma_f64 v[84:85], v[108:109], v[64:65], -v[164:165]
	v_accvgpr_write_b32 a50, v4
	v_fma_f64 v[4:5], s[12:13], v[188:189], v[4:5]
	v_add_f64 v[164:165], v[8:9], -v[86:87]
	v_mul_f64 v[138:139], v[92:93], v[42:43]
	v_mul_f64 v[148:149], v[112:113], v[70:71]
	v_add_f64 v[0:1], v[4:5], v[0:1]
	v_mul_f64 v[4:5], v[164:165], s[26:27]
	v_mul_f64 v[146:147], v[108:109], v[66:67]
	v_fmac_f64_e32 v[138:139], v[94:95], v[40:41]
	v_fmac_f64_e32 v[148:149], v[114:115], v[68:69]
	v_add_f64 v[192:193], v[136:137], v[152:153]
	v_accvgpr_write_b32 a53, v5
	v_mul_f64 v[150:151], v[94:95], v[42:43]
	v_mul_f64 v[166:167], v[114:115], v[70:71]
	v_fmac_f64_e32 v[146:147], v[110:111], v[64:65]
	v_accvgpr_write_b32 a52, v4
	v_fma_f64 v[4:5], v[192:193], s[12:13], -v[4:5]
	v_add_f64 v[110:111], v[138:139], -v[148:149]
	v_fma_f64 v[10:11], v[92:93], v[40:41], -v[150:151]
	v_fma_f64 v[80:81], v[112:113], v[68:69], -v[166:167]
	v_add_f64 v[2:3], v[4:5], v[2:3]
	v_mul_f64 v[4:5], v[110:111], s[24:25]
	v_add_f64 v[194:195], v[10:11], v[80:81]
	v_accvgpr_write_b32 a55, v5
	v_accvgpr_write_b32 a54, v4
	v_fma_f64 v[4:5], s[18:19], v[194:195], v[4:5]
	v_add_f64 v[112:113], v[10:11], -v[80:81]
	v_add_f64 v[0:1], v[4:5], v[0:1]
	v_mul_f64 v[4:5], v[112:113], s[24:25]
	v_mul_f64 v[140:141], v[96:97], v[46:47]
	v_add_f64 v[198:199], v[138:139], v[148:149]
	v_accvgpr_write_b32 a57, v5
	v_fmac_f64_e32 v[140:141], v[98:99], v[44:45]
	v_accvgpr_write_b32 a56, v4
	v_fma_f64 v[4:5], v[198:199], s[18:19], -v[4:5]
	v_mul_f64 v[154:155], v[98:99], v[46:47]
	v_accvgpr_write_b32 a23, v9
	v_add_f64 v[2:3], v[4:5], v[2:3]
	v_add_f64 v[4:5], v[140:141], -v[146:147]
	v_fma_f64 v[12:13], v[96:97], v[44:45], -v[154:155]
	v_accvgpr_write_b32 a22, v8
	v_mul_f64 v[8:9], v[4:5], s[28:29]
	v_accvgpr_write_b32 a34, v80
	v_add_f64 v[206:207], v[12:13], v[84:85]
	v_accvgpr_write_b32 a59, v9
	v_accvgpr_write_b32 a25, v11
	;; [unrolled: 1-line block ×4, first 2 shown]
	v_fma_f64 v[80:81], s[16:17], v[206:207], v[8:9]
	v_add_f64 v[8:9], v[12:13], -v[84:85]
	v_accvgpr_write_b32 a24, v10
	v_mul_f64 v[10:11], v[8:9], s[28:29]
	v_add_f64 v[210:211], v[140:141], v[146:147]
	v_accvgpr_write_b32 a61, v11
	v_accvgpr_write_b32 a60, v10
	v_fma_f64 v[10:11], v[210:211], s[16:17], -v[10:11]
	v_accvgpr_write_b32 a27, v13
	v_add_f64 v[2:3], v[10:11], v[2:3]
	v_add_f64 v[10:11], v[142:143], -v[144:145]
	v_accvgpr_write_b32 a26, v12
	v_mul_f64 v[12:13], v[10:11], s[30:31]
	v_add_f64 v[226:227], v[14:15], v[82:83]
	v_accvgpr_write_b32 a63, v13
	v_add_f64 v[0:1], v[80:81], v[0:1]
	v_accvgpr_write_b32 a62, v12
	v_fma_f64 v[80:81], s[22:23], v[226:227], v[12:13]
	v_add_f64 v[12:13], v[14:15], -v[82:83]
	v_add_f64 v[80:81], v[80:81], v[0:1]
	v_mul_f64 v[0:1], v[12:13], s[30:31]
	v_add_f64 v[230:231], v[142:143], v[144:145]
	v_accvgpr_write_b32 a65, v1
	v_accvgpr_write_b32 a30, v82
	;; [unrolled: 1-line block ×3, first 2 shown]
	v_fma_f64 v[0:1], v[230:231], s[22:23], -v[0:1]
	v_accvgpr_write_b32 a31, v83
	v_add_f64 v[82:83], v[0:1], v[2:3]
	v_mul_f64 v[0:1], v[100:101], s[20:21]
	v_accvgpr_write_b32 a67, v1
	v_mul_f64 v[2:3], v[102:103], s[24:25]
	v_accvgpr_write_b32 a66, v0
	v_fma_f64 v[0:1], s[10:11], v[172:173], v[0:1]
	v_accvgpr_write_b32 a69, v3
	v_add_f64 v[0:1], v[76:77], v[0:1]
	v_accvgpr_write_b32 a68, v2
	v_fma_f64 v[2:3], s[18:19], v[178:179], v[2:3]
	v_accvgpr_write_b32 a29, v15
	v_add_f64 v[0:1], v[2:3], v[0:1]
	v_mul_f64 v[2:3], v[104:105], s[20:21]
	v_accvgpr_write_b32 a28, v14
	v_accvgpr_write_b32 a73, v3
	v_mul_f64 v[14:15], v[106:107], s[24:25]
	v_accvgpr_write_b32 a72, v2
	v_fma_f64 v[2:3], v[186:187], s[10:11], -v[2:3]
	v_accvgpr_write_b32 a77, v15
	v_add_f64 v[2:3], v[78:79], v[2:3]
	v_accvgpr_write_b32 a76, v14
	v_fma_f64 v[14:15], v[182:183], s[18:19], -v[14:15]
	v_add_f64 v[2:3], v[14:15], v[2:3]
	v_mul_f64 v[14:15], v[212:213], s[30:31]
	v_accvgpr_write_b32 a71, v15
	v_accvgpr_write_b32 a70, v14
	v_fma_f64 v[14:15], s[22:23], v[188:189], v[14:15]
	v_add_f64 v[0:1], v[14:15], v[0:1]
	v_mul_f64 v[14:15], v[164:165], s[30:31]
	v_accvgpr_write_b32 a79, v15
	v_accvgpr_write_b32 a78, v14
	v_fma_f64 v[14:15], v[192:193], s[22:23], -v[14:15]
	v_add_f64 v[2:3], v[14:15], v[2:3]
	v_mul_f64 v[14:15], v[110:111], s[36:37]
	v_accvgpr_write_b32 a75, v15
	v_accvgpr_write_b32 a74, v14
	v_fma_f64 v[14:15], s[16:17], v[194:195], v[14:15]
	v_mul_f64 v[222:223], v[112:113], s[36:37]
	v_add_f64 v[0:1], v[14:15], v[0:1]
	v_fma_f64 v[14:15], v[198:199], s[16:17], -v[222:223]
	v_add_f64 v[2:3], v[14:15], v[2:3]
	v_mul_f64 v[14:15], v[4:5], s[34:35]
	v_accvgpr_write_b32 a81, v15
	v_accvgpr_write_b32 a80, v14
	v_fma_f64 v[14:15], s[12:13], v[206:207], v[14:15]
	v_mul_f64 v[228:229], v[8:9], s[34:35]
	s_mov_b32 s15, 0x3fddbe06
	v_add_f64 v[0:1], v[14:15], v[0:1]
	v_fma_f64 v[14:15], v[210:211], s[12:13], -v[228:229]
	v_mul_f64 v[224:225], v[10:11], s[14:15]
	v_accvgpr_write_b32 a32, v84
	v_add_f64 v[2:3], v[14:15], v[2:3]
	v_fma_f64 v[14:15], s[6:7], v[226:227], v[224:225]
	v_mul_f64 v[232:233], v[12:13], s[14:15]
	v_accvgpr_write_b32 a36, v86
	v_accvgpr_write_b32 a33, v85
	v_add_f64 v[84:85], v[14:15], v[0:1]
	v_fma_f64 v[0:1], v[230:231], s[6:7], -v[232:233]
	v_mul_f64 v[234:235], v[100:101], s[26:27]
	v_accvgpr_write_b32 a37, v87
	v_add_f64 v[86:87], v[0:1], v[2:3]
	v_fma_f64 v[0:1], s[12:13], v[172:173], v[234:235]
	v_mul_f64 v[236:237], v[102:103], s[30:31]
	v_add_f64 v[0:1], v[76:77], v[0:1]
	v_fma_f64 v[2:3], s[22:23], v[178:179], v[236:237]
	v_mul_f64 v[240:241], v[104:105], s[26:27]
	v_add_f64 v[0:1], v[2:3], v[0:1]
	v_fma_f64 v[2:3], v[186:187], s[12:13], -v[240:241]
	v_mul_f64 v[244:245], v[106:107], s[30:31]
	v_add_f64 v[2:3], v[78:79], v[2:3]
	v_fma_f64 v[14:15], v[182:183], s[22:23], -v[244:245]
	v_mul_f64 v[238:239], v[212:213], s[38:39]
	v_add_f64 v[2:3], v[14:15], v[2:3]
	v_fma_f64 v[14:15], s[18:19], v[188:189], v[238:239]
	v_mul_f64 v[248:249], v[164:165], s[38:39]
	v_add_f64 v[0:1], v[14:15], v[0:1]
	v_fma_f64 v[14:15], v[192:193], s[18:19], -v[248:249]
	v_mul_f64 v[242:243], v[110:111], s[14:15]
	v_add_f64 v[2:3], v[14:15], v[2:3]
	v_fma_f64 v[14:15], s[6:7], v[194:195], v[242:243]
	v_mul_f64 v[252:253], v[112:113], s[14:15]
	v_add_f64 v[0:1], v[14:15], v[0:1]
	v_fma_f64 v[14:15], v[198:199], s[6:7], -v[252:253]
	v_mul_f64 v[246:247], v[4:5], s[20:21]
	v_add_f64 v[2:3], v[14:15], v[2:3]
	v_fma_f64 v[14:15], s[10:11], v[206:207], v[246:247]
	v_mul_f64 v[254:255], v[8:9], s[20:21]
	v_add_f64 v[0:1], v[14:15], v[0:1]
	v_fma_f64 v[14:15], v[210:211], s[10:11], -v[254:255]
	v_mul_f64 v[250:251], v[10:11], s[28:29]
	v_accvgpr_write_b32 a48, v88
	v_add_f64 v[2:3], v[14:15], v[2:3]
	v_fma_f64 v[14:15], s[16:17], v[226:227], v[250:251]
	v_mul_f64 v[118:119], v[12:13], s[28:29]
	v_accvgpr_write_b32 a49, v89
	v_add_f64 v[88:89], v[14:15], v[0:1]
	v_fma_f64 v[0:1], v[230:231], s[16:17], -v[118:119]
	v_mul_f64 v[120:121], v[100:101], s[24:25]
	v_add_f64 v[90:91], v[0:1], v[2:3]
	v_fma_f64 v[0:1], s[18:19], v[172:173], v[120:121]
	v_mul_f64 v[122:123], v[102:103], s[36:37]
	v_add_f64 v[0:1], v[76:77], v[0:1]
	v_fma_f64 v[2:3], s[16:17], v[178:179], v[122:123]
	v_mul_f64 v[154:155], v[104:105], s[24:25]
	v_add_f64 v[0:1], v[2:3], v[0:1]
	v_fma_f64 v[2:3], v[186:187], s[18:19], -v[154:155]
	v_mul_f64 v[158:159], v[106:107], s[36:37]
	v_add_f64 v[2:3], v[78:79], v[2:3]
	v_fma_f64 v[14:15], v[182:183], s[16:17], -v[158:159]
	v_mul_f64 v[124:125], v[212:213], s[14:15]
	v_add_f64 v[2:3], v[14:15], v[2:3]
	v_fma_f64 v[14:15], s[6:7], v[188:189], v[124:125]
	v_mul_f64 v[166:167], v[164:165], s[14:15]
	v_add_f64 v[0:1], v[14:15], v[0:1]
	v_fma_f64 v[14:15], v[192:193], s[6:7], -v[166:167]
	v_mul_f64 v[126:127], v[110:111], s[26:27]
	v_add_f64 v[2:3], v[14:15], v[2:3]
	v_fma_f64 v[14:15], s[12:13], v[194:195], v[126:127]
	v_mul_f64 v[168:169], v[112:113], s[26:27]
	s_mov_b32 s27, 0x3fcea1e5
	s_mov_b32 s26, s30
	v_add_f64 v[0:1], v[14:15], v[0:1]
	v_fma_f64 v[14:15], v[198:199], s[12:13], -v[168:169]
	v_mul_f64 v[150:151], v[4:5], s[26:27]
	v_add_f64 v[2:3], v[14:15], v[2:3]
	v_fma_f64 v[14:15], s[22:23], v[206:207], v[150:151]
	v_mul_f64 v[170:171], v[8:9], s[26:27]
	s_mov_b32 s37, 0x3fea55e2
	s_mov_b32 s36, s20
	v_add_f64 v[0:1], v[14:15], v[0:1]
	v_fma_f64 v[14:15], v[210:211], s[22:23], -v[170:171]
	v_mul_f64 v[162:163], v[10:11], s[36:37]
	v_add_f64 v[2:3], v[14:15], v[2:3]
	v_fma_f64 v[14:15], s[10:11], v[226:227], v[162:163]
	v_mul_f64 v[108:109], v[12:13], s[36:37]
	v_add_f64 v[92:93], v[14:15], v[0:1]
	v_fma_f64 v[0:1], v[230:231], s[10:11], -v[108:109]
	v_mul_f64 v[114:115], v[100:101], s[28:29]
	v_add_f64 v[94:95], v[0:1], v[2:3]
	v_fma_f64 v[0:1], s[16:17], v[172:173], v[114:115]
	v_mul_f64 v[116:117], v[102:103], s[34:35]
	v_add_f64 v[0:1], v[76:77], v[0:1]
	v_fma_f64 v[2:3], s[12:13], v[178:179], v[116:117]
	v_mul_f64 v[184:185], v[104:105], s[28:29]
	v_add_f64 v[0:1], v[2:3], v[0:1]
	v_fma_f64 v[2:3], v[186:187], s[16:17], -v[184:185]
	v_mul_f64 v[196:197], v[106:107], s[34:35]
	v_add_f64 v[2:3], v[78:79], v[2:3]
	v_fma_f64 v[14:15], v[182:183], s[12:13], -v[196:197]
	v_mul_f64 v[174:175], v[212:213], s[20:21]
	v_add_f64 v[2:3], v[14:15], v[2:3]
	v_fma_f64 v[14:15], s[10:11], v[188:189], v[174:175]
	v_mul_f64 v[200:201], v[164:165], s[20:21]
	v_add_f64 v[0:1], v[14:15], v[0:1]
	v_fma_f64 v[14:15], v[192:193], s[10:11], -v[200:201]
	v_mul_f64 v[176:177], v[110:111], s[26:27]
	v_add_f64 v[2:3], v[14:15], v[2:3]
	v_fma_f64 v[14:15], s[22:23], v[194:195], v[176:177]
	;; [unrolled: 6-line block ×5, first 2 shown]
	v_mul_f64 v[216:217], v[102:103], s[14:15]
	v_add_f64 v[0:1], v[76:77], v[0:1]
	v_fma_f64 v[2:3], s[6:7], v[178:179], v[216:217]
	v_mul_f64 v[218:219], v[104:105], s[30:31]
	v_add_f64 v[0:1], v[2:3], v[0:1]
	v_fma_f64 v[2:3], v[186:187], s[22:23], -v[218:219]
	v_mul_f64 v[220:221], v[106:107], s[14:15]
	v_add_f64 v[2:3], v[78:79], v[2:3]
	v_fma_f64 v[14:15], v[182:183], s[6:7], -v[220:221]
	v_mul_f64 v[104:105], v[212:213], s[28:29]
	v_add_f64 v[2:3], v[14:15], v[2:3]
	v_fma_f64 v[14:15], s[16:17], v[188:189], v[104:105]
	v_add_f64 v[14:15], v[14:15], v[0:1]
	v_mul_f64 v[0:1], v[164:165], s[28:29]
	v_fma_f64 v[100:101], v[192:193], s[16:17], -v[0:1]
	v_mul_f64 v[106:107], v[110:111], s[36:37]
	v_add_f64 v[100:101], v[100:101], v[2:3]
	v_fma_f64 v[2:3], s[10:11], v[194:195], v[106:107]
	v_add_f64 v[14:15], v[2:3], v[14:15]
	v_mul_f64 v[2:3], v[112:113], s[36:37]
	v_mul_f64 v[112:113], v[4:5], s[24:25]
	v_fma_f64 v[102:103], v[198:199], s[10:11], -v[2:3]
	v_fma_f64 v[4:5], s[18:19], v[206:207], v[112:113]
	v_mul_f64 v[110:111], v[8:9], s[24:25]
	v_add_f64 v[100:101], v[102:103], v[100:101]
	v_add_f64 v[14:15], v[4:5], v[14:15]
	v_fma_f64 v[4:5], v[210:211], s[18:19], -v[110:111]
	v_mul_f64 v[164:165], v[10:11], s[34:35]
	v_add_f64 v[8:9], v[4:5], v[100:101]
	v_mul_f64 v[4:5], v[12:13], s[34:35]
	v_fma_f64 v[10:11], s[12:13], v[226:227], v[164:165]
	v_add_f64 v[100:101], v[10:11], v[14:15]
	v_fma_f64 v[10:11], v[230:231], s[12:13], -v[4:5]
	v_add_f64 v[102:103], v[10:11], v[8:9]
	v_lshl_add_u64 v[212:213], s[4:5], 0, v[130:131]
	s_and_saveexec_b64 s[14:15], vcc
	s_cbranch_execz .LBB0_5
; %bb.4:
	v_mul_f64 v[10:11], v[198:199], s[10:11]
	v_add_f64 v[2:3], v[2:3], v[10:11]
	v_mul_f64 v[10:11], v[192:193], s[16:17]
	v_mul_f64 v[12:13], v[186:187], s[22:23]
	v_add_f64 v[0:1], v[0:1], v[10:11]
	v_mul_f64 v[10:11], v[182:183], s[6:7]
	v_add_f64 v[12:13], v[218:219], v[12:13]
	v_add_f64 v[10:11], v[220:221], v[10:11]
	;; [unrolled: 1-line block ×4, first 2 shown]
	v_mul_f64 v[12:13], v[194:195], s[10:11]
	v_add_f64 v[12:13], v[12:13], -v[106:107]
	v_mul_f64 v[14:15], v[188:189], s[16:17]
	v_mul_f64 v[106:107], v[172:173], s[22:23]
	;; [unrolled: 1-line block ×3, first 2 shown]
	v_add_f64 v[14:15], v[14:15], -v[104:105]
	v_mul_f64 v[104:105], v[178:179], s[6:7]
	v_add_f64 v[106:107], v[106:107], -v[214:215]
	v_add_f64 v[4:5], v[4:5], v[8:9]
	v_mul_f64 v[8:9], v[210:211], s[18:19]
	v_add_f64 v[0:1], v[0:1], v[10:11]
	v_add_f64 v[104:105], v[104:105], -v[216:217]
	v_add_f64 v[106:107], v[76:77], v[106:107]
	v_add_f64 v[8:9], v[110:111], v[8:9]
	;; [unrolled: 1-line block ×5, first 2 shown]
	v_mul_f64 v[8:9], v[206:207], s[18:19]
	v_add_f64 v[14:15], v[14:15], v[104:105]
	v_mul_f64 v[2:3], v[226:227], s[12:13]
	v_add_f64 v[8:9], v[8:9], -v[112:113]
	v_add_f64 v[12:13], v[12:13], v[14:15]
	v_add_f64 v[2:3], v[2:3], -v[164:165]
	v_add_f64 v[8:9], v[8:9], v[12:13]
	v_mul_f64 v[10:11], v[186:187], s[6:7]
	v_mul_f64 v[214:215], v[186:187], s[10:11]
	;; [unrolled: 1-line block ×3, first 2 shown]
	v_add_f64 v[106:107], v[4:5], v[0:1]
	v_add_f64 v[104:105], v[2:3], v[8:9]
	v_mul_f64 v[4:5], v[186:187], s[18:19]
	v_mul_f64 v[2:3], v[186:187], s[16:17]
	;; [unrolled: 1-line block ×3, first 2 shown]
	v_add_f64 v[186:187], v[200:201], v[186:187]
	v_mul_f64 v[200:201], v[182:183], s[12:13]
	v_add_f64 v[2:3], v[184:185], v[2:3]
	v_add_f64 v[196:197], v[196:197], v[200:201]
	;; [unrolled: 1-line block ×3, first 2 shown]
	v_mul_f64 v[110:111], v[172:173], s[6:7]
	v_mul_f64 v[164:165], v[172:173], s[10:11]
	v_mul_f64 v[216:217], v[172:173], s[12:13]
	v_mul_f64 v[12:13], v[172:173], s[18:19]
	v_mul_f64 v[0:1], v[172:173], s[16:17]
	v_mul_f64 v[172:173], v[198:199], s[22:23]
	v_add_f64 v[2:3], v[196:197], v[2:3]
	v_mul_f64 v[112:113], v[210:211], s[6:7]
	v_add_f64 v[172:173], v[202:203], v[172:173]
	v_add_f64 v[2:3], v[186:187], v[2:3]
	;; [unrolled: 1-line block ×5, first 2 shown]
	v_mul_f64 v[112:113], v[226:227], s[18:19]
	v_add_f64 v[112:113], v[112:113], -v[190:191]
	v_mul_f64 v[190:191], v[206:207], s[6:7]
	v_add_f64 v[180:181], v[190:191], -v[180:181]
	;; [unrolled: 2-line block ×5, first 2 shown]
	v_add_f64 v[116:117], v[190:191], -v[116:117]
	v_add_f64 v[0:1], v[76:77], v[0:1]
	v_add_f64 v[0:1], v[116:117], v[0:1]
	;; [unrolled: 1-line block ×3, first 2 shown]
	v_mul_f64 v[184:185], v[182:183], s[10:11]
	v_mul_f64 v[186:187], v[182:183], s[18:19]
	;; [unrolled: 1-line block ×4, first 2 shown]
	v_add_f64 v[0:1], v[176:177], v[0:1]
	v_add_f64 v[4:5], v[154:155], v[4:5]
	;; [unrolled: 1-line block ×3, first 2 shown]
	v_mul_f64 v[114:115], v[192:193], s[6:7]
	v_mul_f64 v[180:181], v[230:231], s[10:11]
	v_add_f64 v[158:159], v[158:159], v[182:183]
	v_add_f64 v[4:5], v[78:79], v[4:5]
	;; [unrolled: 1-line block ×3, first 2 shown]
	v_mul_f64 v[180:181], v[210:211], s[22:23]
	v_add_f64 v[114:115], v[166:167], v[114:115]
	v_add_f64 v[4:5], v[158:159], v[4:5]
	;; [unrolled: 1-line block ×3, first 2 shown]
	v_mul_f64 v[180:181], v[198:199], s[12:13]
	v_add_f64 v[4:5], v[114:115], v[4:5]
	v_mul_f64 v[114:115], v[226:227], s[10:11]
	v_mul_f64 v[8:9], v[230:231], s[18:19]
	;; [unrolled: 1-line block ×6, first 2 shown]
	v_add_f64 v[168:169], v[168:169], v[180:181]
	v_add_f64 v[162:163], v[114:115], -v[162:163]
	v_mul_f64 v[114:115], v[206:207], s[22:23]
	v_add_f64 v[12:13], v[12:13], -v[120:121]
	v_add_f64 v[8:9], v[208:209], v[8:9]
	v_add_f64 v[0:1], v[112:113], v[0:1]
	v_mul_f64 v[112:113], v[188:189], s[6:7]
	v_add_f64 v[4:5], v[168:169], v[4:5]
	v_add_f64 v[150:151], v[114:115], -v[150:151]
	v_add_f64 v[114:115], v[178:179], -v[122:123]
	v_add_f64 v[12:13], v[76:77], v[12:13]
	v_mul_f64 v[204:205], v[192:193], s[12:13]
	v_mul_f64 v[176:177], v[192:193], s[22:23]
	v_add_f64 v[2:3], v[8:9], v[2:3]
	v_mul_f64 v[8:9], v[192:193], s[18:19]
	v_mul_f64 v[192:193], v[194:195], s[12:13]
	v_add_f64 v[4:5], v[170:171], v[4:5]
	v_add_f64 v[112:113], v[112:113], -v[124:125]
	v_add_f64 v[12:13], v[114:115], v[12:13]
	v_add_f64 v[126:127], v[192:193], -v[126:127]
	v_add_f64 v[114:115], v[108:109], v[4:5]
	v_add_f64 v[4:5], v[112:113], v[12:13]
	;; [unrolled: 1-line block ×3, first 2 shown]
	v_mul_f64 v[202:203], v[188:189], s[12:13]
	v_mul_f64 v[174:175], v[188:189], s[22:23]
	;; [unrolled: 1-line block ×16, first 2 shown]
	v_add_f64 v[4:5], v[150:151], v[4:5]
	v_add_f64 v[14:15], v[240:241], v[14:15]
	;; [unrolled: 1-line block ×10, first 2 shown]
	v_add_f64 v[14:15], v[116:117], -v[238:239]
	v_add_f64 v[116:117], v[216:217], -v[234:235]
	v_add_f64 v[8:9], v[108:109], v[8:9]
	v_add_f64 v[108:109], v[172:173], -v[236:237]
	v_add_f64 v[116:117], v[76:77], v[116:117]
	v_add_f64 v[12:13], v[254:255], v[206:207]
	;; [unrolled: 1-line block ×4, first 2 shown]
	v_add_f64 v[12:13], v[158:159], -v[242:243]
	v_add_f64 v[14:15], v[14:15], v[108:109]
	v_mul_f64 v[208:209], v[226:227], s[16:17]
	v_add_f64 v[118:119], v[4:5], v[8:9]
	v_add_f64 v[8:9], v[198:199], -v[246:247]
	v_add_f64 v[12:13], v[12:13], v[14:15]
	v_mul_f64 v[122:123], v[230:231], s[6:7]
	v_add_f64 v[4:5], v[208:209], -v[250:251]
	v_add_f64 v[8:9], v[8:9], v[12:13]
	v_add_f64 v[116:117], v[4:5], v[8:9]
	v_add_f64 v[4:5], v[232:233], v[122:123]
	v_accvgpr_read_b32 v123, a73
	v_accvgpr_read_b32 v109, a77
	;; [unrolled: 1-line block ×5, first 2 shown]
	v_add_f64 v[122:123], v[122:123], v[214:215]
	v_accvgpr_read_b32 v15, a79
	v_add_f64 v[108:109], v[108:109], v[186:187]
	v_add_f64 v[122:123], v[78:79], v[122:123]
	;; [unrolled: 1-line block ×8, first 2 shown]
	v_mul_f64 v[120:121], v[226:227], s[6:7]
	v_add_f64 v[8:9], v[8:9], v[12:13]
	v_add_f64 v[122:123], v[4:5], v[8:9]
	v_add_f64 v[4:5], v[120:121], -v[224:225]
	v_accvgpr_read_b32 v121, a67
	v_accvgpr_read_b32 v109, a69
	;; [unrolled: 1-line block ×5, first 2 shown]
	v_add_f64 v[120:121], v[164:165], -v[120:121]
	v_accvgpr_read_b32 v12, a74
	v_accvgpr_read_b32 v15, a71
	v_add_f64 v[108:109], v[196:197], -v[108:109]
	v_add_f64 v[120:121], v[76:77], v[120:121]
	v_accvgpr_read_b32 v8, a80
	v_accvgpr_read_b32 v13, a75
	v_add_f64 v[14:15], v[174:175], -v[14:15]
	v_add_f64 v[108:109], v[108:109], v[120:121]
	;; [unrolled: 4-line block ×4, first 2 shown]
	v_accvgpr_read_b32 v14, a52
	v_accvgpr_read_b32 v108, a48
	v_add_f64 v[10:11], v[126:127], v[10:11]
	v_add_f64 v[8:9], v[8:9], v[12:13]
	v_accvgpr_read_b32 v12, a56
	v_accvgpr_read_b32 v15, a53
	v_add_f64 v[108:109], v[108:109], v[184:185]
	v_add_f64 v[10:11], v[78:79], v[10:11]
	v_add_f64 v[120:121], v[4:5], v[8:9]
	v_accvgpr_read_b32 v8, a60
	v_accvgpr_read_b32 v13, a57
	v_add_f64 v[14:15], v[14:15], v[204:205]
	v_add_f64 v[10:11], v[108:109], v[10:11]
	v_accvgpr_read_b32 v109, a43
	v_accvgpr_read_b32 v4, a64
	;; [unrolled: 1-line block ×3, first 2 shown]
	v_add_f64 v[12:13], v[12:13], v[166:167]
	v_add_f64 v[10:11], v[14:15], v[10:11]
	v_accvgpr_read_b32 v14, a44
	v_accvgpr_read_b32 v108, a42
	v_mul_f64 v[178:179], v[230:231], s[22:23]
	v_accvgpr_read_b32 v5, a65
	v_add_f64 v[8:9], v[8:9], v[168:169]
	v_add_f64 v[10:11], v[12:13], v[10:11]
	v_accvgpr_read_b32 v12, a50
	v_accvgpr_read_b32 v15, a45
	v_add_f64 v[108:109], v[110:111], -v[108:109]
	v_add_f64 v[4:5], v[4:5], v[178:179]
	v_add_f64 v[8:9], v[8:9], v[10:11]
	v_accvgpr_read_b32 v10, a54
	v_accvgpr_read_b32 v13, a51
	v_add_f64 v[14:15], v[200:201], -v[14:15]
	;; [unrolled: 5-line block ×3, first 2 shown]
	v_add_f64 v[14:15], v[14:15], v[108:109]
	v_accvgpr_read_b32 v4, a62
	v_accvgpr_read_b32 v9, a59
	v_add_f64 v[10:11], v[180:181], -v[10:11]
	v_add_f64 v[12:13], v[12:13], v[14:15]
	v_mul_f64 v[124:125], v[226:227], s[22:23]
	v_accvgpr_read_b32 v5, a63
	v_add_f64 v[8:9], v[194:195], -v[8:9]
	v_add_f64 v[10:11], v[10:11], v[12:13]
	v_add_f64 v[4:5], v[124:125], -v[4:5]
	v_add_f64 v[8:9], v[8:9], v[10:11]
	v_add_f64 v[124:125], v[4:5], v[8:9]
	;; [unrolled: 1-line block ×14, first 2 shown]
	v_accvgpr_read_b32 v4, a18
	v_accvgpr_read_b32 v5, a19
	;; [unrolled: 1-line block ×3, first 2 shown]
	v_add_f64 v[4:5], v[76:77], v[4:5]
	v_accvgpr_read_b32 v9, a21
	v_add_f64 v[4:5], v[4:5], v[8:9]
	v_accvgpr_read_b32 v8, a22
	v_accvgpr_read_b32 v9, a23
	v_add_f64 v[4:5], v[4:5], v[8:9]
	v_accvgpr_read_b32 v8, a24
	v_accvgpr_read_b32 v9, a25
	v_add_f64 v[4:5], v[4:5], v[8:9]
	v_accvgpr_read_b32 v8, a26
	v_accvgpr_read_b32 v9, a27
	v_add_f64 v[4:5], v[4:5], v[8:9]
	v_accvgpr_read_b32 v8, a28
	v_accvgpr_read_b32 v9, a29
	v_add_f64 v[4:5], v[4:5], v[8:9]
	v_accvgpr_read_b32 v8, a30
	v_accvgpr_read_b32 v9, a31
	v_add_f64 v[4:5], v[4:5], v[8:9]
	v_accvgpr_read_b32 v8, a32
	v_accvgpr_read_b32 v9, a33
	v_add_f64 v[4:5], v[4:5], v[8:9]
	v_accvgpr_read_b32 v8, a34
	v_accvgpr_read_b32 v9, a35
	v_add_f64 v[4:5], v[4:5], v[8:9]
	v_accvgpr_read_b32 v8, a36
	v_accvgpr_read_b32 v9, a37
	v_add_f64 v[4:5], v[4:5], v[8:9]
	v_accvgpr_read_b32 v8, a38
	v_accvgpr_read_b32 v9, a39
	v_add_f64 v[4:5], v[4:5], v[8:9]
	v_accvgpr_read_b32 v8, a40
	v_accvgpr_read_b32 v9, a41
	v_add_f64 v[76:77], v[4:5], v[8:9]
	v_accvgpr_read_b32 v4, a16
	v_lshl_add_u32 v4, v6, 4, v4
	ds_write_b128 v7, v[76:79]
	ds_write_b128 v4, v[124:127] offset:112
	ds_write_b128 v4, v[120:123] offset:224
	;; [unrolled: 1-line block ×12, first 2 shown]
.LBB0_5:
	s_or_b64 exec, exec, s[14:15]
	s_waitcnt lgkmcnt(0)
	s_barrier
	global_load_dwordx4 v[0:3], v[212:213], off offset:1456
	s_add_u32 s4, s4, 0x5b0
	s_addc_u32 s5, s5, 0
	global_load_dwordx4 v[76:79], v130, s[4:5] offset:208
	global_load_dwordx4 v[104:107], v130, s[4:5] offset:416
	;; [unrolled: 1-line block ×6, first 2 shown]
	ds_read_b128 v[124:127], v7
	ds_read_b128 v[130:133], v7 offset:208
	ds_read_b128 v[134:137], v7 offset:416
	;; [unrolled: 1-line block ×6, first 2 shown]
	s_mov_b32 s4, 0x37e14327
	s_mov_b32 s5, 0x3fe948f6
	;; [unrolled: 1-line block ×6, first 2 shown]
	s_waitcnt vmcnt(6) lgkmcnt(6)
	v_mul_f64 v[8:9], v[126:127], v[2:3]
	v_mul_f64 v[4:5], v[124:125], v[2:3]
	v_fma_f64 v[2:3], v[124:125], v[0:1], -v[8:9]
	v_fmac_f64_e32 v[4:5], v[126:127], v[0:1]
	ds_write_b128 v7, v[2:5]
	s_waitcnt vmcnt(5) lgkmcnt(6)
	v_mul_f64 v[0:1], v[132:133], v[78:79]
	v_mul_f64 v[2:3], v[130:131], v[78:79]
	s_waitcnt vmcnt(4) lgkmcnt(5)
	v_mul_f64 v[4:5], v[136:137], v[106:107]
	v_mul_f64 v[78:79], v[134:135], v[106:107]
	;; [unrolled: 3-line block ×6, first 2 shown]
	v_fma_f64 v[0:1], v[130:131], v[76:77], -v[0:1]
	v_fmac_f64_e32 v[2:3], v[132:133], v[76:77]
	v_fma_f64 v[76:77], v[134:135], v[104:105], -v[4:5]
	v_fmac_f64_e32 v[78:79], v[136:137], v[104:105]
	;; [unrolled: 2-line block ×6, first 2 shown]
	ds_write_b128 v7, v[0:3] offset:208
	ds_write_b128 v7, v[76:79] offset:416
	;; [unrolled: 1-line block ×6, first 2 shown]
	s_waitcnt lgkmcnt(0)
	s_barrier
	ds_read_b128 v[0:3], v7
	ds_read_b128 v[76:79], v7 offset:208
	ds_read_b128 v[104:107], v7 offset:1248
	;; [unrolled: 1-line block ×6, first 2 shown]
	s_waitcnt lgkmcnt(4)
	v_add_f64 v[4:5], v[76:77], v[104:105]
	v_add_f64 v[8:9], v[78:79], v[106:107]
	v_add_f64 v[10:11], v[76:77], -v[104:105]
	v_add_f64 v[12:13], v[78:79], -v[106:107]
	s_waitcnt lgkmcnt(0)
	v_add_f64 v[14:15], v[108:109], v[120:121]
	v_add_f64 v[76:77], v[110:111], v[122:123]
	v_add_f64 v[78:79], v[108:109], -v[120:121]
	v_add_f64 v[104:105], v[110:111], -v[122:123]
	v_add_f64 v[106:107], v[112:113], v[116:117]
	v_add_f64 v[108:109], v[114:115], v[118:119]
	v_add_f64 v[110:111], v[116:117], -v[112:113]
	v_add_f64 v[112:113], v[118:119], -v[114:115]
	v_add_f64 v[114:115], v[14:15], v[4:5]
	v_add_f64 v[116:117], v[76:77], v[8:9]
	v_add_f64 v[118:119], v[14:15], -v[4:5]
	v_add_f64 v[120:121], v[76:77], -v[8:9]
	v_add_f64 v[4:5], v[4:5], -v[106:107]
	v_add_f64 v[8:9], v[8:9], -v[108:109]
	;; [unrolled: 1-line block ×4, first 2 shown]
	v_add_f64 v[76:77], v[110:111], v[78:79]
	v_add_f64 v[106:107], v[106:107], v[114:115]
	;; [unrolled: 1-line block ×3, first 2 shown]
	v_add_f64 v[126:127], v[110:111], -v[78:79]
	v_add_f64 v[110:111], v[10:11], -v[110:111]
	;; [unrolled: 1-line block ×3, first 2 shown]
	v_add_f64 v[10:11], v[76:77], v[10:11]
	v_add_f64 v[76:77], v[0:1], v[106:107]
	;; [unrolled: 1-line block ×3, first 2 shown]
	v_mul_f64 v[0:1], v[4:5], s[4:5]
	v_mul_f64 v[2:3], v[8:9], s[4:5]
	s_mov_b32 s4, 0x36b3c0b5
	s_mov_b32 s5, 0x3fac98ee
	v_add_f64 v[124:125], v[112:113], v[104:105]
	v_add_f64 v[130:131], v[112:113], -v[104:105]
	v_mul_f64 v[4:5], v[14:15], s[4:5]
	v_mul_f64 v[8:9], v[122:123], s[4:5]
	v_fma_f64 v[106:107], s[10:11], v[106:107], v[76:77]
	v_fma_f64 v[108:109], s[10:11], v[108:109], v[78:79]
	s_mov_b32 s11, 0x3fe77f67
	s_mov_b32 s10, 0x5476071b
	v_add_f64 v[112:113], v[12:13], -v[112:113]
	v_add_f64 v[104:105], v[104:105], -v[12:13]
	v_add_f64 v[12:13], v[124:125], v[12:13]
	v_mul_f64 v[114:115], v[126:127], s[6:7]
	v_mul_f64 v[124:125], v[130:131], s[6:7]
	s_mov_b32 s6, 0x429ad128
	v_fma_f64 v[4:5], v[118:119], s[10:11], -v[4:5]
	v_fma_f64 v[8:9], v[120:121], s[10:11], -v[8:9]
	s_mov_b32 s11, 0xbfe77f67
	s_mov_b32 s7, 0xbfebfeb5
	v_fma_f64 v[14:15], s[4:5], v[14:15], v[0:1]
	v_fma_f64 v[0:1], v[118:119], s[10:11], -v[0:1]
	v_fma_f64 v[118:119], v[120:121], s[10:11], -v[2:3]
	v_fmac_f64_e32 v[2:3], s[4:5], v[122:123]
	s_mov_b32 s5, 0xbfd5d0dc
	s_mov_b32 s4, 0xb247c609
	v_mul_f64 v[116:117], v[132:133], s[6:7]
	v_mul_f64 v[126:127], v[104:105], s[6:7]
	v_fma_f64 v[130:131], s[4:5], v[110:111], v[114:115]
	v_fma_f64 v[122:123], v[104:105], s[6:7], -v[124:125]
	v_fmac_f64_e32 v[124:125], s[4:5], v[112:113]
	s_mov_b32 s5, 0x3fd5d0dc
	v_fma_f64 v[120:121], v[132:133], s[6:7], -v[114:115]
	v_fma_f64 v[132:133], v[110:111], s[4:5], -v[116:117]
	;; [unrolled: 1-line block ×3, first 2 shown]
	s_mov_b32 s4, 0x37c3f68c
	s_mov_b32 s5, 0xbfdc38aa
	v_add_f64 v[14:15], v[14:15], v[106:107]
	v_add_f64 v[2:3], v[2:3], v[108:109]
	;; [unrolled: 1-line block ×6, first 2 shown]
	v_fmac_f64_e32 v[130:131], s[4:5], v[10:11]
	v_fmac_f64_e32 v[124:125], s[4:5], v[12:13]
	v_fmac_f64_e32 v[120:121], s[4:5], v[10:11]
	v_fmac_f64_e32 v[122:123], s[4:5], v[12:13]
	v_fmac_f64_e32 v[132:133], s[4:5], v[10:11]
	v_fmac_f64_e32 v[126:127], s[4:5], v[12:13]
	v_add_f64 v[104:105], v[14:15], v[124:125]
	v_add_f64 v[106:107], v[2:3], -v[130:131]
	v_add_f64 v[108:109], v[0:1], v[126:127]
	v_add_f64 v[110:111], v[134:135], -v[132:133]
	v_add_f64 v[112:113], v[4:5], -v[122:123]
	v_add_f64 v[114:115], v[120:121], v[8:9]
	v_add_f64 v[116:117], v[4:5], v[122:123]
	v_add_f64 v[118:119], v[8:9], -v[120:121]
	v_add_f64 v[120:121], v[0:1], -v[126:127]
	v_add_f64 v[122:123], v[132:133], v[134:135]
	v_add_f64 v[124:125], v[14:15], -v[124:125]
	v_add_f64 v[126:127], v[130:131], v[2:3]
	s_barrier
	ds_write_b128 v129, v[76:79]
	ds_write_b128 v129, v[104:107] offset:16
	ds_write_b128 v129, v[108:111] offset:32
	;; [unrolled: 1-line block ×6, first 2 shown]
	s_waitcnt lgkmcnt(0)
	s_barrier
	s_and_saveexec_b64 s[4:5], vcc
	s_cbranch_execz .LBB0_7
; %bb.6:
	ds_read_b128 v[76:79], v7
	ds_read_b128 v[104:107], v7 offset:112
	ds_read_b128 v[108:111], v7 offset:224
	;; [unrolled: 1-line block ×12, first 2 shown]
.LBB0_7:
	s_or_b64 exec, exec, s[4:5]
	s_and_saveexec_b64 s[4:5], vcc
	s_cbranch_execz .LBB0_9
; %bb.8:
	s_waitcnt lgkmcnt(6)
	v_mul_f64 v[130:131], v[54:55], v[126:127]
	s_waitcnt lgkmcnt(5)
	v_mul_f64 v[132:133], v[50:51], v[102:103]
	v_mul_f64 v[2:3], v[54:55], v[124:125]
	v_fmac_f64_e32 v[130:131], v[52:53], v[124:125]
	v_fmac_f64_e32 v[132:133], v[48:49], v[100:101]
	v_fma_f64 v[124:125], v[52:53], v[126:127], -v[2:3]
	v_mul_f64 v[2:3], v[50:51], v[100:101]
	v_mul_f64 v[100:101], v[46:47], v[122:123]
	;; [unrolled: 1-line block ×3, first 2 shown]
	v_fma_f64 v[126:127], v[48:49], v[102:103], -v[2:3]
	v_fmac_f64_e32 v[100:101], v[44:45], v[120:121]
	s_waitcnt lgkmcnt(4)
	v_mul_f64 v[102:103], v[66:67], v[98:99]
	v_fma_f64 v[120:121], v[44:45], v[122:123], -v[8:9]
	v_mul_f64 v[8:9], v[66:67], v[96:97]
	v_mul_f64 v[12:13], v[42:43], v[116:117]
	v_fmac_f64_e32 v[102:103], v[64:65], v[96:97]
	v_fma_f64 v[96:97], v[64:65], v[98:99], -v[8:9]
	s_waitcnt lgkmcnt(3)
	v_mul_f64 v[64:65], v[70:71], v[94:95]
	v_fma_f64 v[98:99], v[40:41], v[118:119], -v[12:13]
	v_mul_f64 v[12:13], v[70:71], v[92:93]
	v_fmac_f64_e32 v[64:65], v[68:69], v[92:93]
	v_fma_f64 v[70:71], v[68:69], v[94:95], -v[12:13]
	v_mul_f64 v[92:93], v[38:39], v[114:115]
	s_waitcnt lgkmcnt(2)
	v_mul_f64 v[68:69], v[74:75], v[90:91]
	v_mul_f64 v[38:39], v[38:39], v[112:113]
	v_fmac_f64_e32 v[92:93], v[36:37], v[112:113]
	v_fmac_f64_e32 v[68:69], v[72:73], v[88:89]
	v_fma_f64 v[94:95], v[36:37], v[114:115], -v[38:39]
	v_mul_f64 v[36:37], v[74:75], v[88:89]
	v_mul_f64 v[88:89], v[34:35], v[110:111]
	;; [unrolled: 1-line block ×3, first 2 shown]
	v_fma_f64 v[74:75], v[72:73], v[90:91], -v[36:37]
	v_fmac_f64_e32 v[88:89], v[32:33], v[108:109]
	s_waitcnt lgkmcnt(1)
	v_mul_f64 v[72:73], v[62:63], v[86:87]
	v_fma_f64 v[90:91], v[32:33], v[110:111], -v[34:35]
	v_mul_f64 v[32:33], v[62:63], v[84:85]
	v_fmac_f64_e32 v[72:73], v[60:61], v[84:85]
	v_fma_f64 v[62:63], v[60:61], v[86:87], -v[32:33]
	v_mul_f64 v[84:85], v[30:31], v[106:107]
	s_waitcnt lgkmcnt(0)
	v_mul_f64 v[60:61], v[58:59], v[82:83]
	v_mul_f64 v[30:31], v[30:31], v[104:105]
	v_fmac_f64_e32 v[84:85], v[28:29], v[104:105]
	v_fmac_f64_e32 v[60:61], v[56:57], v[80:81]
	s_mov_b32 s28, 0x4bc48dbf
	v_fma_f64 v[86:87], v[28:29], v[106:107], -v[30:31]
	v_mul_f64 v[28:29], v[58:59], v[80:81]
	v_add_f64 v[144:145], v[84:85], -v[60:61]
	s_mov_b32 s29, 0xbfcea1e5
	v_fma_f64 v[56:57], v[56:57], v[82:83], -v[28:29]
	s_mov_b32 s26, 0x93053d00
	v_mul_f64 v[66:67], v[42:43], v[118:119]
	s_mov_b32 s20, 0x24c2f84
	v_add_f64 v[114:115], v[88:89], -v[72:73]
	s_mov_b32 s25, 0x3fddbe06
	s_mov_b32 s24, 0x4267c47c
	s_mov_b32 s18, 0xe00740e9
	v_mul_f64 v[34:35], v[144:145], s[28:29]
	v_add_f64 v[58:59], v[86:87], v[56:57]
	s_mov_b32 s27, 0xbfef11f4
	v_fmac_f64_e32 v[66:67], v[40:41], v[116:117]
	s_mov_b32 s34, 0x42a4c3d2
	v_add_f64 v[118:119], v[92:93], -v[68:69]
	s_mov_b32 s21, 0xbfe5384d
	v_mul_f64 v[38:39], v[114:115], s[24:25]
	v_add_f64 v[108:109], v[90:91], v[62:63]
	s_mov_b32 s19, 0x3fec55a7
	v_fma_f64 v[28:29], s[26:27], v[58:59], v[34:35]
	v_add_f64 v[156:157], v[86:87], -v[56:57]
	s_mov_b32 s14, 0x2ef20147
	v_add_f64 v[140:141], v[66:67], -v[64:65]
	s_mov_b32 s35, 0x3fea55e2
	s_mov_b32 s12, 0x1ea71119
	v_mul_f64 v[14:15], v[118:119], s[20:21]
	v_add_f64 v[112:113], v[94:95], v[74:75]
	v_fma_f64 v[32:33], s[18:19], v[108:109], v[38:39]
	v_add_f64 v[28:29], v[78:79], v[28:29]
	v_add_f64 v[154:155], v[90:91], -v[62:63]
	v_add_f64 v[142:143], v[84:85], v[60:61]
	v_mul_f64 v[48:49], v[156:157], s[28:29]
	s_mov_b32 s22, 0x66966769
	v_add_f64 v[138:139], v[100:101], -v[102:103]
	s_mov_b32 s15, 0xbfedeba7
	s_mov_b32 s10, 0xb2365da1
	v_mul_f64 v[10:11], v[140:141], s[34:35]
	v_add_f64 v[116:117], v[98:99], v[70:71]
	s_mov_b32 s13, 0x3fe22d96
	v_fma_f64 v[36:37], s[16:17], v[112:113], v[14:15]
	v_add_f64 v[28:29], v[32:33], v[28:29]
	v_add_f64 v[152:153], v[94:95], -v[74:75]
	v_add_f64 v[110:111], v[88:89], v[72:73]
	v_mul_f64 v[44:45], v[154:155], s[24:25]
	v_fma_f64 v[50:51], v[142:143], s[26:27], -v[48:49]
	v_add_f64 v[136:137], v[130:131], -v[132:133]
	s_mov_b32 s23, 0x3fefc445
	s_mov_b32 s6, 0xebaa3ed8
	v_mul_f64 v[4:5], v[138:139], s[14:15]
	v_add_f64 v[122:123], v[120:121], v[96:97]
	s_mov_b32 s11, 0xbfd6b1d8
	v_fma_f64 v[12:13], s[12:13], v[116:117], v[10:11]
	v_add_f64 v[28:29], v[36:37], v[28:29]
	v_add_f64 v[150:151], v[98:99], -v[70:71]
	v_add_f64 v[106:107], v[92:93], v[68:69]
	v_mul_f64 v[40:41], v[152:153], s[20:21]
	v_fma_f64 v[46:47], v[110:111], s[18:19], -v[44:45]
	v_add_f64 v[50:51], v[76:77], v[50:51]
	v_mul_f64 v[0:1], v[136:137], s[22:23]
	v_add_f64 v[134:135], v[124:125], v[126:127]
	s_mov_b32 s7, 0x3fbedb7d
	v_fma_f64 v[8:9], s[10:11], v[122:123], v[4:5]
	v_add_f64 v[12:13], v[12:13], v[28:29]
	v_add_f64 v[148:149], v[120:121], -v[96:97]
	v_add_f64 v[104:105], v[66:67], v[64:65]
	v_mul_f64 v[32:33], v[150:151], s[34:35]
	v_fma_f64 v[42:43], v[106:107], s[16:17], -v[40:41]
	v_add_f64 v[46:47], v[46:47], v[50:51]
	v_fma_f64 v[2:3], s[6:7], v[134:135], v[0:1]
	v_add_f64 v[8:9], v[8:9], v[12:13]
	v_add_f64 v[146:147], v[124:125], -v[126:127]
	v_add_f64 v[82:83], v[100:101], v[102:103]
	v_mul_f64 v[12:13], v[148:149], s[14:15]
	v_fma_f64 v[36:37], v[104:105], s[12:13], -v[32:33]
	v_add_f64 v[42:43], v[42:43], v[46:47]
	v_add_f64 v[30:31], v[2:3], v[8:9]
	;; [unrolled: 1-line block ×3, first 2 shown]
	v_mul_f64 v[2:3], v[146:147], s[22:23]
	v_fma_f64 v[28:29], v[82:83], s[10:11], -v[12:13]
	v_add_f64 v[36:37], v[36:37], v[42:43]
	v_fma_f64 v[8:9], v[80:81], s[6:7], -v[2:3]
	v_add_f64 v[28:29], v[28:29], v[36:37]
	;; [unrolled: 2-line block ×3, first 2 shown]
	v_fma_f64 v[8:9], v[116:117], s[12:13], -v[10:11]
	v_fma_f64 v[10:11], v[112:113], s[16:17], -v[14:15]
	v_fma_f64 v[14:15], v[108:109], s[18:19], -v[38:39]
	v_add_f64 v[34:35], v[78:79], v[34:35]
	v_add_f64 v[14:15], v[14:15], v[34:35]
	v_add_f64 v[10:11], v[10:11], v[14:15]
	v_fma_f64 v[4:5], v[122:123], s[10:11], -v[4:5]
	v_add_f64 v[8:9], v[8:9], v[10:11]
	v_fma_f64 v[0:1], v[134:135], s[6:7], -v[0:1]
	v_add_f64 v[4:5], v[4:5], v[8:9]
	v_fmac_f64_e32 v[48:49], s[26:27], v[142:143]
	v_add_f64 v[34:35], v[0:1], v[4:5]
	v_fmac_f64_e32 v[44:45], s[18:19], v[110:111]
	;; [unrolled: 2-line block ×3, first 2 shown]
	v_add_f64 v[0:1], v[44:45], v[0:1]
	v_mul_f64 v[42:43], v[144:145], s[20:21]
	v_add_f64 v[0:1], v[40:41], v[0:1]
	s_mov_b32 s31, 0xbfea55e2
	s_mov_b32 s30, s34
	v_mul_f64 v[40:41], v[114:115], s[22:23]
	v_fma_f64 v[44:45], s[16:17], v[58:59], v[42:43]
	v_fmac_f64_e32 v[32:33], s[12:13], v[104:105]
	s_mov_b32 s41, 0x3fcea1e5
	s_mov_b32 s40, s28
	v_mul_f64 v[14:15], v[118:119], s[30:31]
	v_fma_f64 v[38:39], s[6:7], v[108:109], v[40:41]
	v_add_f64 v[44:45], v[78:79], v[44:45]
	v_mul_f64 v[158:159], v[156:157], s[20:21]
	v_fmac_f64_e32 v[12:13], s[10:11], v[82:83]
	v_add_f64 v[0:1], v[32:33], v[0:1]
	v_mul_f64 v[10:11], v[140:141], s[40:41]
	v_fma_f64 v[36:37], s[12:13], v[112:113], v[14:15]
	v_add_f64 v[38:39], v[38:39], v[44:45]
	v_mul_f64 v[52:53], v[154:155], s[22:23]
	v_fma_f64 v[160:161], v[142:143], s[16:17], -v[158:159]
	v_fmac_f64_e32 v[2:3], s[6:7], v[80:81]
	v_add_f64 v[0:1], v[12:13], v[0:1]
	v_mul_f64 v[4:5], v[138:139], s[24:25]
	v_fma_f64 v[12:13], s[26:27], v[116:117], v[10:11]
	v_add_f64 v[36:37], v[36:37], v[38:39]
	v_mul_f64 v[48:49], v[152:153], s[30:31]
	v_fma_f64 v[54:55], v[110:111], s[6:7], -v[52:53]
	v_add_f64 v[160:161], v[76:77], v[160:161]
	v_add_f64 v[32:33], v[2:3], v[0:1]
	v_mul_f64 v[0:1], v[136:137], s[14:15]
	v_fma_f64 v[8:9], s[18:19], v[122:123], v[4:5]
	v_add_f64 v[12:13], v[12:13], v[36:37]
	v_mul_f64 v[44:45], v[150:151], s[40:41]
	v_fma_f64 v[50:51], v[106:107], s[12:13], -v[48:49]
	v_add_f64 v[54:55], v[54:55], v[160:161]
	v_fma_f64 v[2:3], s[10:11], v[134:135], v[0:1]
	v_add_f64 v[8:9], v[8:9], v[12:13]
	v_mul_f64 v[12:13], v[148:149], s[24:25]
	v_fma_f64 v[46:47], v[104:105], s[26:27], -v[44:45]
	v_add_f64 v[50:51], v[50:51], v[54:55]
	v_add_f64 v[38:39], v[2:3], v[8:9]
	v_mul_f64 v[2:3], v[146:147], s[14:15]
	v_fma_f64 v[36:37], v[82:83], s[18:19], -v[12:13]
	v_add_f64 v[46:47], v[46:47], v[50:51]
	v_fma_f64 v[8:9], v[80:81], s[10:11], -v[2:3]
	v_add_f64 v[36:37], v[36:37], v[46:47]
	v_add_f64 v[36:37], v[8:9], v[36:37]
	v_fma_f64 v[8:9], v[116:117], s[26:27], -v[10:11]
	v_fma_f64 v[10:11], v[112:113], s[12:13], -v[14:15]
	;; [unrolled: 1-line block ×4, first 2 shown]
	v_add_f64 v[40:41], v[78:79], v[40:41]
	v_add_f64 v[14:15], v[14:15], v[40:41]
	;; [unrolled: 1-line block ×3, first 2 shown]
	v_fma_f64 v[4:5], v[122:123], s[18:19], -v[4:5]
	v_add_f64 v[8:9], v[8:9], v[10:11]
	v_fma_f64 v[0:1], v[134:135], s[10:11], -v[0:1]
	v_add_f64 v[4:5], v[4:5], v[8:9]
	v_fmac_f64_e32 v[158:159], s[16:17], v[142:143]
	v_add_f64 v[42:43], v[0:1], v[4:5]
	v_fmac_f64_e32 v[52:53], s[6:7], v[110:111]
	;; [unrolled: 2-line block ×3, first 2 shown]
	v_add_f64 v[0:1], v[52:53], v[0:1]
	s_mov_b32 s39, 0x3fe5384d
	s_mov_b32 s38, s20
	v_mul_f64 v[50:51], v[144:145], s[14:15]
	v_add_f64 v[0:1], v[48:49], v[0:1]
	v_mul_f64 v[48:49], v[114:115], s[38:39]
	v_fma_f64 v[52:53], s[10:11], v[58:59], v[50:51]
	v_fmac_f64_e32 v[44:45], s[26:27], v[104:105]
	s_mov_b32 s37, 0xbfefc445
	s_mov_b32 s36, s22
	v_mul_f64 v[14:15], v[118:119], s[24:25]
	v_fma_f64 v[46:47], s[16:17], v[108:109], v[48:49]
	v_add_f64 v[52:53], v[78:79], v[52:53]
	v_mul_f64 v[166:167], v[156:157], s[14:15]
	v_fmac_f64_e32 v[12:13], s[18:19], v[82:83]
	v_add_f64 v[0:1], v[44:45], v[0:1]
	v_mul_f64 v[10:11], v[140:141], s[36:37]
	v_fma_f64 v[44:45], s[18:19], v[112:113], v[14:15]
	v_add_f64 v[46:47], v[46:47], v[52:53]
	v_mul_f64 v[162:163], v[154:155], s[38:39]
	v_fma_f64 v[168:169], v[142:143], s[10:11], -v[166:167]
	v_fmac_f64_e32 v[2:3], s[10:11], v[80:81]
	v_add_f64 v[0:1], v[12:13], v[0:1]
	v_mul_f64 v[4:5], v[138:139], s[40:41]
	v_fma_f64 v[12:13], s[6:7], v[116:117], v[10:11]
	v_add_f64 v[44:45], v[44:45], v[46:47]
	v_mul_f64 v[158:159], v[152:153], s[24:25]
	v_fma_f64 v[164:165], v[110:111], s[16:17], -v[162:163]
	v_add_f64 v[168:169], v[76:77], v[168:169]
	v_add_f64 v[40:41], v[2:3], v[0:1]
	v_mul_f64 v[0:1], v[136:137], s[34:35]
	v_fma_f64 v[8:9], s[26:27], v[122:123], v[4:5]
	v_add_f64 v[12:13], v[12:13], v[44:45]
	v_mul_f64 v[52:53], v[150:151], s[36:37]
	v_fma_f64 v[160:161], v[106:107], s[18:19], -v[158:159]
	v_add_f64 v[164:165], v[164:165], v[168:169]
	v_fma_f64 v[2:3], s[12:13], v[134:135], v[0:1]
	v_add_f64 v[8:9], v[8:9], v[12:13]
	v_mul_f64 v[12:13], v[148:149], s[40:41]
	v_fma_f64 v[54:55], v[104:105], s[6:7], -v[52:53]
	v_add_f64 v[160:161], v[160:161], v[164:165]
	v_add_f64 v[46:47], v[2:3], v[8:9]
	v_mul_f64 v[2:3], v[146:147], s[34:35]
	v_fma_f64 v[44:45], v[82:83], s[26:27], -v[12:13]
	v_add_f64 v[54:55], v[54:55], v[160:161]
	v_fma_f64 v[8:9], v[80:81], s[12:13], -v[2:3]
	v_add_f64 v[44:45], v[44:45], v[54:55]
	v_add_f64 v[44:45], v[8:9], v[44:45]
	v_fma_f64 v[8:9], v[116:117], s[6:7], -v[10:11]
	v_fma_f64 v[10:11], v[112:113], s[18:19], -v[14:15]
	;; [unrolled: 1-line block ×4, first 2 shown]
	v_add_f64 v[48:49], v[78:79], v[48:49]
	v_add_f64 v[14:15], v[14:15], v[48:49]
	;; [unrolled: 1-line block ×3, first 2 shown]
	v_fma_f64 v[4:5], v[122:123], s[26:27], -v[4:5]
	v_add_f64 v[8:9], v[8:9], v[10:11]
	v_fma_f64 v[0:1], v[134:135], s[12:13], -v[0:1]
	v_add_f64 v[4:5], v[4:5], v[8:9]
	v_fmac_f64_e32 v[166:167], s[10:11], v[142:143]
	v_add_f64 v[50:51], v[0:1], v[4:5]
	v_fmac_f64_e32 v[162:163], s[16:17], v[110:111]
	;; [unrolled: 2-line block ×3, first 2 shown]
	v_add_f64 v[0:1], v[162:163], v[0:1]
	v_mul_f64 v[160:161], v[144:145], s[36:37]
	v_add_f64 v[0:1], v[158:159], v[0:1]
	s_mov_b32 s35, 0x3fedeba7
	s_mov_b32 s34, s14
	v_mul_f64 v[158:159], v[114:115], s[28:29]
	v_fma_f64 v[162:163], s[6:7], v[58:59], v[160:161]
	v_fmac_f64_e32 v[52:53], s[6:7], v[104:105]
	v_mul_f64 v[14:15], v[118:119], s[34:35]
	v_fma_f64 v[54:55], s[26:27], v[108:109], v[158:159]
	v_add_f64 v[162:163], v[78:79], v[162:163]
	v_mul_f64 v[174:175], v[156:157], s[36:37]
	v_fmac_f64_e32 v[12:13], s[26:27], v[82:83]
	v_add_f64 v[0:1], v[52:53], v[0:1]
	v_mul_f64 v[10:11], v[140:141], s[24:25]
	v_fma_f64 v[52:53], s[10:11], v[112:113], v[14:15]
	v_add_f64 v[54:55], v[54:55], v[162:163]
	v_mul_f64 v[170:171], v[154:155], s[28:29]
	v_fma_f64 v[176:177], v[142:143], s[6:7], -v[174:175]
	v_fmac_f64_e32 v[2:3], s[12:13], v[80:81]
	v_add_f64 v[0:1], v[12:13], v[0:1]
	v_mul_f64 v[4:5], v[138:139], s[30:31]
	v_fma_f64 v[12:13], s[18:19], v[116:117], v[10:11]
	v_add_f64 v[52:53], v[52:53], v[54:55]
	v_mul_f64 v[166:167], v[152:153], s[34:35]
	v_fma_f64 v[172:173], v[110:111], s[26:27], -v[170:171]
	v_add_f64 v[176:177], v[76:77], v[176:177]
	v_add_f64 v[48:49], v[2:3], v[0:1]
	v_mul_f64 v[0:1], v[136:137], s[20:21]
	v_fma_f64 v[8:9], s[12:13], v[122:123], v[4:5]
	v_add_f64 v[12:13], v[12:13], v[52:53]
	v_mul_f64 v[162:163], v[150:151], s[24:25]
	v_fma_f64 v[168:169], v[106:107], s[10:11], -v[166:167]
	v_add_f64 v[172:173], v[172:173], v[176:177]
	v_fma_f64 v[2:3], s[16:17], v[134:135], v[0:1]
	v_add_f64 v[8:9], v[8:9], v[12:13]
	v_mul_f64 v[12:13], v[148:149], s[30:31]
	v_fma_f64 v[164:165], v[104:105], s[18:19], -v[162:163]
	v_add_f64 v[168:169], v[168:169], v[172:173]
	v_add_f64 v[54:55], v[2:3], v[8:9]
	v_mul_f64 v[8:9], v[146:147], s[20:21]
	v_fma_f64 v[52:53], v[82:83], s[12:13], -v[12:13]
	v_add_f64 v[164:165], v[164:165], v[168:169]
	v_fma_f64 v[2:3], v[80:81], s[16:17], -v[8:9]
	v_add_f64 v[52:53], v[52:53], v[164:165]
	v_add_f64 v[52:53], v[2:3], v[52:53]
	v_fma_f64 v[2:3], v[122:123], s[12:13], -v[4:5]
	v_fma_f64 v[4:5], v[116:117], s[18:19], -v[10:11]
	v_fma_f64 v[10:11], v[112:113], s[10:11], -v[14:15]
	v_fma_f64 v[14:15], v[108:109], s[26:27], -v[158:159]
	v_fma_f64 v[158:159], v[58:59], s[6:7], -v[160:161]
	v_add_f64 v[158:159], v[78:79], v[158:159]
	v_add_f64 v[14:15], v[14:15], v[158:159]
	;; [unrolled: 1-line block ×4, first 2 shown]
	v_fma_f64 v[0:1], v[134:135], s[16:17], -v[0:1]
	v_add_f64 v[2:3], v[2:3], v[4:5]
	v_fmac_f64_e32 v[174:175], s[6:7], v[142:143]
	v_add_f64 v[2:3], v[0:1], v[2:3]
	v_fmac_f64_e32 v[170:171], s[26:27], v[110:111]
	;; [unrolled: 2-line block ×3, first 2 shown]
	v_add_f64 v[0:1], v[170:171], v[0:1]
	v_mul_f64 v[168:169], v[144:145], s[30:31]
	v_fmac_f64_e32 v[162:163], s[18:19], v[104:105]
	v_add_f64 v[0:1], v[166:167], v[0:1]
	v_mul_f64 v[164:165], v[114:115], s[14:15]
	v_fma_f64 v[170:171], s[12:13], v[58:59], v[168:169]
	v_add_f64 v[0:1], v[162:163], v[0:1]
	v_mul_f64 v[162:163], v[118:119], s[28:29]
	v_fma_f64 v[166:167], s[10:11], v[108:109], v[164:165]
	v_add_f64 v[170:171], v[78:79], v[170:171]
	v_mul_f64 v[182:183], v[156:157], s[30:31]
	v_mul_f64 v[14:15], v[140:141], s[38:39]
	v_fma_f64 v[160:161], s[26:27], v[112:113], v[162:163]
	v_add_f64 v[166:167], v[166:167], v[170:171]
	v_mul_f64 v[178:179], v[154:155], s[14:15]
	v_fma_f64 v[184:185], v[142:143], s[12:13], -v[182:183]
	v_fmac_f64_e32 v[12:13], s[12:13], v[82:83]
	v_mul_f64 v[10:11], v[138:139], s[22:23]
	v_fma_f64 v[158:159], s[16:17], v[116:117], v[14:15]
	v_add_f64 v[160:161], v[160:161], v[166:167]
	v_mul_f64 v[174:175], v[152:153], s[28:29]
	v_fma_f64 v[180:181], v[110:111], s[10:11], -v[178:179]
	v_add_f64 v[184:185], v[76:77], v[184:185]
	v_fmac_f64_e32 v[8:9], s[16:17], v[80:81]
	v_add_f64 v[0:1], v[12:13], v[0:1]
	v_mul_f64 v[4:5], v[136:137], s[24:25]
	v_fma_f64 v[12:13], s[6:7], v[122:123], v[10:11]
	v_add_f64 v[158:159], v[158:159], v[160:161]
	v_mul_f64 v[170:171], v[150:151], s[38:39]
	v_fma_f64 v[176:177], v[106:107], s[26:27], -v[174:175]
	v_add_f64 v[180:181], v[180:181], v[184:185]
	v_add_f64 v[0:1], v[8:9], v[0:1]
	v_fma_f64 v[8:9], s[18:19], v[134:135], v[4:5]
	v_add_f64 v[12:13], v[12:13], v[158:159]
	v_mul_f64 v[166:167], v[148:149], s[22:23]
	v_fma_f64 v[172:173], v[104:105], s[16:17], -v[170:171]
	v_add_f64 v[176:177], v[176:177], v[180:181]
	v_add_f64 v[160:161], v[8:9], v[12:13]
	v_mul_f64 v[8:9], v[146:147], s[24:25]
	v_fma_f64 v[158:159], v[82:83], s[6:7], -v[166:167]
	v_add_f64 v[172:173], v[172:173], v[176:177]
	v_fma_f64 v[12:13], v[80:81], s[18:19], -v[8:9]
	v_add_f64 v[158:159], v[158:159], v[172:173]
	v_add_f64 v[158:159], v[12:13], v[158:159]
	v_fma_f64 v[12:13], v[116:117], s[16:17], -v[14:15]
	v_fma_f64 v[14:15], v[112:113], s[26:27], -v[162:163]
	;; [unrolled: 1-line block ×4, first 2 shown]
	v_add_f64 v[164:165], v[78:79], v[164:165]
	v_add_f64 v[162:163], v[162:163], v[164:165]
	;; [unrolled: 1-line block ×3, first 2 shown]
	v_fma_f64 v[10:11], v[122:123], s[6:7], -v[10:11]
	v_add_f64 v[12:13], v[12:13], v[14:15]
	v_fma_f64 v[4:5], v[134:135], s[18:19], -v[4:5]
	v_add_f64 v[10:11], v[10:11], v[12:13]
	v_fmac_f64_e32 v[182:183], s[12:13], v[142:143]
	v_add_f64 v[164:165], v[4:5], v[10:11]
	v_fmac_f64_e32 v[178:179], s[10:11], v[110:111]
	;; [unrolled: 2-line block ×4, first 2 shown]
	v_add_f64 v[4:5], v[174:175], v[4:5]
	s_mov_b32 s25, 0xbfddbe06
	v_fmac_f64_e32 v[166:167], s[6:7], v[82:83]
	v_add_f64 v[4:5], v[170:171], v[4:5]
	v_mul_f64 v[144:145], v[144:145], s[24:25]
	v_add_f64 v[4:5], v[166:167], v[4:5]
	v_mul_f64 v[114:115], v[114:115], s[30:31]
	v_fma_f64 v[166:167], s[18:19], v[58:59], v[144:145]
	v_mul_f64 v[14:15], v[140:141], s[14:15]
	v_mul_f64 v[118:119], v[118:119], s[36:37]
	v_fma_f64 v[140:141], s[12:13], v[108:109], v[114:115]
	v_add_f64 v[166:167], v[78:79], v[166:167]
	v_fmac_f64_e32 v[8:9], s[18:19], v[80:81]
	v_mul_f64 v[10:11], v[138:139], s[20:21]
	v_fma_f64 v[138:139], s[6:7], v[112:113], v[118:119]
	v_add_f64 v[140:141], v[140:141], v[166:167]
	v_add_f64 v[162:163], v[8:9], v[4:5]
	v_mul_f64 v[4:5], v[136:137], s[28:29]
	v_fma_f64 v[136:137], s[10:11], v[116:117], v[14:15]
	v_add_f64 v[138:139], v[138:139], v[140:141]
	v_fma_f64 v[12:13], s[16:17], v[122:123], v[10:11]
	v_add_f64 v[136:137], v[136:137], v[138:139]
	v_mul_f64 v[156:157], v[156:157], s[24:25]
	v_fma_f64 v[8:9], s[26:27], v[134:135], v[4:5]
	v_add_f64 v[12:13], v[12:13], v[136:137]
	v_mul_f64 v[154:155], v[154:155], s[30:31]
	v_fma_f64 v[168:169], v[142:143], s[18:19], -v[156:157]
	v_add_f64 v[138:139], v[8:9], v[12:13]
	v_mul_f64 v[8:9], v[146:147], s[28:29]
	v_mul_f64 v[146:147], v[150:151], s[14:15]
	;; [unrolled: 1-line block ×3, first 2 shown]
	v_fma_f64 v[166:167], v[110:111], s[12:13], -v[154:155]
	v_add_f64 v[168:169], v[76:77], v[168:169]
	v_fma_f64 v[152:153], v[106:107], s[6:7], -v[150:151]
	v_add_f64 v[166:167], v[166:167], v[168:169]
	v_mul_f64 v[140:141], v[148:149], s[20:21]
	v_fma_f64 v[148:149], v[104:105], s[10:11], -v[146:147]
	v_add_f64 v[152:153], v[152:153], v[166:167]
	v_fma_f64 v[136:137], v[82:83], s[16:17], -v[140:141]
	v_add_f64 v[148:149], v[148:149], v[152:153]
	v_fma_f64 v[58:59], v[58:59], s[18:19], -v[144:145]
	v_fma_f64 v[12:13], v[80:81], s[26:27], -v[8:9]
	v_add_f64 v[136:137], v[136:137], v[148:149]
	v_fma_f64 v[108:109], v[108:109], s[12:13], -v[114:115]
	v_add_f64 v[58:59], v[78:79], v[58:59]
	v_add_f64 v[136:137], v[12:13], v[136:137]
	v_fma_f64 v[12:13], v[116:117], s[10:11], -v[14:15]
	v_fma_f64 v[14:15], v[112:113], s[6:7], -v[118:119]
	v_add_f64 v[58:59], v[108:109], v[58:59]
	v_add_f64 v[14:15], v[14:15], v[58:59]
	v_fma_f64 v[10:11], v[122:123], s[16:17], -v[10:11]
	v_add_f64 v[12:13], v[12:13], v[14:15]
	v_fma_f64 v[4:5], v[134:135], s[26:27], -v[4:5]
	v_add_f64 v[10:11], v[10:11], v[12:13]
	v_fmac_f64_e32 v[156:157], s[18:19], v[142:143]
	v_add_f64 v[108:109], v[4:5], v[10:11]
	v_fmac_f64_e32 v[154:155], s[12:13], v[110:111]
	;; [unrolled: 2-line block ×6, first 2 shown]
	v_add_f64 v[4:5], v[140:141], v[4:5]
	v_add_f64 v[106:107], v[8:9], v[4:5]
	;; [unrolled: 1-line block ×26, first 2 shown]
	v_accvgpr_read_b32 v4, a16
	v_lshl_add_u32 v4, v6, 4, v4
	ds_write_b128 v7, v[56:59]
	ds_write_b128 v4, v[106:109] offset:112
	ds_write_b128 v4, v[162:165] offset:224
	;; [unrolled: 1-line block ×12, first 2 shown]
.LBB0_9:
	s_or_b64 exec, exec, s[4:5]
	s_waitcnt lgkmcnt(0)
	s_barrier
	ds_read_b128 v[0:3], v7
	ds_read_b128 v[28:31], v7 offset:208
	v_mad_u64_u32 v[8:9], s[4:5], s2, v128, 0
	v_mov_b32_e32 v10, v9
	v_mad_u64_u32 v[10:11], s[2:3], s3, v128, v[10:11]
	v_mov_b32_e32 v9, v10
	s_waitcnt lgkmcnt(1)
	v_mul_f64 v[10:11], v[26:27], v[2:3]
	v_fmac_f64_e32 v[10:11], v[24:25], v[0:1]
	s_mov_b32 s2, 0x16816817
	v_mul_f64 v[0:1], v[26:27], v[0:1]
	s_mov_b32 s3, 0x3f868168
	v_fma_f64 v[0:1], v[24:25], v[2:3], -v[0:1]
	v_mul_f64 v[34:35], v[0:1], s[2:3]
	v_mad_u64_u32 v[0:1], s[4:5], s0, v6, 0
	v_mov_b32_e32 v2, v1
	v_mov_b32_e32 v4, s8
	;; [unrolled: 1-line block ×3, first 2 shown]
	v_mad_u64_u32 v[2:3], s[4:5], s1, v6, v[2:3]
	v_mov_b32_e32 v1, v2
	v_lshl_add_u64 v[2:3], v[8:9], 4, v[4:5]
	v_lshl_add_u64 v[4:5], v[0:1], 4, v[2:3]
	s_waitcnt lgkmcnt(0)
	v_mul_f64 v[0:1], v[18:19], v[30:31]
	v_mul_f64 v[2:3], v[18:19], v[28:29]
	v_fmac_f64_e32 v[0:1], v[16:17], v[28:29]
	v_fma_f64 v[2:3], v[16:17], v[30:31], -v[2:3]
	ds_read_b128 v[16:19], v7 offset:416
	v_mul_f64 v[32:33], v[10:11], s[2:3]
	v_mov_b32_e32 v10, 0xd0
	global_store_dwordx4 v[4:5], v[32:35], off
	v_mad_u64_u32 v[4:5], s[4:5], s0, v10, v[4:5]
	s_mul_i32 s6, s1, 0xd0
	v_mul_f64 v[0:1], v[0:1], s[2:3]
	v_mul_f64 v[2:3], v[2:3], s[2:3]
	v_add_u32_e32 v5, s6, v5
	v_accvgpr_read_b32 v15, a3
	global_store_dwordx4 v[4:5], v[0:3], off
	ds_read_b128 v[0:3], v7 offset:624
	v_accvgpr_read_b32 v14, a2
	v_accvgpr_read_b32 v13, a1
	;; [unrolled: 1-line block ×3, first 2 shown]
	s_waitcnt lgkmcnt(1)
	v_mul_f64 v[8:9], v[14:15], v[18:19]
	v_fmac_f64_e32 v[8:9], v[12:13], v[16:17]
	v_mul_f64 v[24:25], v[8:9], s[2:3]
	v_mul_f64 v[8:9], v[14:15], v[16:17]
	v_fma_f64 v[8:9], v[12:13], v[18:19], -v[8:9]
	v_mul_f64 v[26:27], v[8:9], s[2:3]
	s_waitcnt lgkmcnt(0)
	v_mul_f64 v[8:9], v[22:23], v[2:3]
	v_fmac_f64_e32 v[8:9], v[20:21], v[0:1]
	v_mul_f64 v[0:1], v[22:23], v[0:1]
	v_fma_f64 v[0:1], v[20:21], v[2:3], -v[0:1]
	v_mad_u64_u32 v[4:5], s[4:5], s0, v10, v[4:5]
	v_mul_f64 v[18:19], v[0:1], s[2:3]
	ds_read_b128 v[0:3], v7 offset:832
	v_add_u32_e32 v5, s6, v5
	global_store_dwordx4 v[4:5], v[24:27], off
	v_mad_u64_u32 v[4:5], s[4:5], s0, v10, v[4:5]
	v_mul_f64 v[16:17], v[8:9], s[2:3]
	v_add_u32_e32 v5, s6, v5
	v_accvgpr_read_b32 v15, a7
	global_store_dwordx4 v[4:5], v[16:19], off
	ds_read_b128 v[16:19], v7 offset:1040
	v_accvgpr_read_b32 v14, a6
	v_accvgpr_read_b32 v13, a5
	;; [unrolled: 1-line block ×3, first 2 shown]
	s_waitcnt lgkmcnt(1)
	v_mul_f64 v[8:9], v[14:15], v[2:3]
	v_fmac_f64_e32 v[8:9], v[12:13], v[0:1]
	v_mul_f64 v[0:1], v[14:15], v[0:1]
	v_mul_f64 v[20:21], v[8:9], s[2:3]
	v_fma_f64 v[0:1], v[12:13], v[2:3], -v[0:1]
	v_mad_u64_u32 v[8:9], s[4:5], s0, v10, v[4:5]
	v_accvgpr_read_b32 v15, a11
	ds_read_b128 v[4:7], v7 offset:1248
	v_accvgpr_read_b32 v14, a10
	v_mul_f64 v[22:23], v[0:1], s[2:3]
	v_add_u32_e32 v9, s6, v9
	v_accvgpr_read_b32 v13, a9
	v_accvgpr_read_b32 v12, a8
	s_waitcnt lgkmcnt(1)
	v_mul_f64 v[0:1], v[14:15], v[18:19]
	v_mul_f64 v[2:3], v[14:15], v[16:17]
	global_store_dwordx4 v[8:9], v[20:23], off
	v_fmac_f64_e32 v[0:1], v[12:13], v[16:17]
	v_fma_f64 v[2:3], v[12:13], v[18:19], -v[2:3]
	v_mad_u64_u32 v[8:9], s[4:5], s0, v10, v[8:9]
	v_accvgpr_read_b32 v12, a12
	v_mul_f64 v[0:1], v[0:1], s[2:3]
	v_mul_f64 v[2:3], v[2:3], s[2:3]
	v_add_u32_e32 v9, s6, v9
	v_accvgpr_read_b32 v14, a14
	v_accvgpr_read_b32 v15, a15
	global_store_dwordx4 v[8:9], v[0:3], off
	v_accvgpr_read_b32 v13, a13
	s_waitcnt lgkmcnt(0)
	v_mul_f64 v[0:1], v[14:15], v[6:7]
	v_mul_f64 v[2:3], v[14:15], v[4:5]
	v_fmac_f64_e32 v[0:1], v[12:13], v[4:5]
	v_fma_f64 v[2:3], v[12:13], v[6:7], -v[2:3]
	v_mad_u64_u32 v[4:5], s[0:1], s0, v10, v[8:9]
	v_mul_f64 v[0:1], v[0:1], s[2:3]
	v_mul_f64 v[2:3], v[2:3], s[2:3]
	v_add_u32_e32 v5, s6, v5
	global_store_dwordx4 v[4:5], v[0:3], off
.LBB0_10:
	s_endpgm
	.section	.rodata,"a",@progbits
	.p2align	6, 0x0
	.amdhsa_kernel bluestein_single_fwd_len91_dim1_dp_op_CI_CI
		.amdhsa_group_segment_fixed_size 27664
		.amdhsa_private_segment_fixed_size 0
		.amdhsa_kernarg_size 104
		.amdhsa_user_sgpr_count 2
		.amdhsa_user_sgpr_dispatch_ptr 0
		.amdhsa_user_sgpr_queue_ptr 0
		.amdhsa_user_sgpr_kernarg_segment_ptr 1
		.amdhsa_user_sgpr_dispatch_id 0
		.amdhsa_user_sgpr_kernarg_preload_length 0
		.amdhsa_user_sgpr_kernarg_preload_offset 0
		.amdhsa_user_sgpr_private_segment_size 0
		.amdhsa_uses_dynamic_stack 0
		.amdhsa_enable_private_segment 0
		.amdhsa_system_sgpr_workgroup_id_x 1
		.amdhsa_system_sgpr_workgroup_id_y 0
		.amdhsa_system_sgpr_workgroup_id_z 0
		.amdhsa_system_sgpr_workgroup_info 0
		.amdhsa_system_vgpr_workitem_id 0
		.amdhsa_next_free_vgpr 338
		.amdhsa_next_free_sgpr 42
		.amdhsa_accum_offset 256
		.amdhsa_reserve_vcc 1
		.amdhsa_float_round_mode_32 0
		.amdhsa_float_round_mode_16_64 0
		.amdhsa_float_denorm_mode_32 3
		.amdhsa_float_denorm_mode_16_64 3
		.amdhsa_dx10_clamp 1
		.amdhsa_ieee_mode 1
		.amdhsa_fp16_overflow 0
		.amdhsa_tg_split 0
		.amdhsa_exception_fp_ieee_invalid_op 0
		.amdhsa_exception_fp_denorm_src 0
		.amdhsa_exception_fp_ieee_div_zero 0
		.amdhsa_exception_fp_ieee_overflow 0
		.amdhsa_exception_fp_ieee_underflow 0
		.amdhsa_exception_fp_ieee_inexact 0
		.amdhsa_exception_int_div_zero 0
	.end_amdhsa_kernel
	.text
.Lfunc_end0:
	.size	bluestein_single_fwd_len91_dim1_dp_op_CI_CI, .Lfunc_end0-bluestein_single_fwd_len91_dim1_dp_op_CI_CI
                                        ; -- End function
	.section	.AMDGPU.csdata,"",@progbits
; Kernel info:
; codeLenInByte = 13672
; NumSgprs: 48
; NumVgprs: 256
; NumAgprs: 82
; TotalNumVgprs: 338
; ScratchSize: 0
; MemoryBound: 0
; FloatMode: 240
; IeeeMode: 1
; LDSByteSize: 27664 bytes/workgroup (compile time only)
; SGPRBlocks: 5
; VGPRBlocks: 42
; NumSGPRsForWavesPerEU: 48
; NumVGPRsForWavesPerEU: 338
; AccumOffset: 256
; Occupancy: 1
; WaveLimiterHint : 1
; COMPUTE_PGM_RSRC2:SCRATCH_EN: 0
; COMPUTE_PGM_RSRC2:USER_SGPR: 2
; COMPUTE_PGM_RSRC2:TRAP_HANDLER: 0
; COMPUTE_PGM_RSRC2:TGID_X_EN: 1
; COMPUTE_PGM_RSRC2:TGID_Y_EN: 0
; COMPUTE_PGM_RSRC2:TGID_Z_EN: 0
; COMPUTE_PGM_RSRC2:TIDIG_COMP_CNT: 0
; COMPUTE_PGM_RSRC3_GFX90A:ACCUM_OFFSET: 63
; COMPUTE_PGM_RSRC3_GFX90A:TG_SPLIT: 0
	.text
	.p2alignl 6, 3212836864
	.fill 256, 4, 3212836864
	.type	__hip_cuid_64e31ba96c3792fe,@object ; @__hip_cuid_64e31ba96c3792fe
	.section	.bss,"aw",@nobits
	.globl	__hip_cuid_64e31ba96c3792fe
__hip_cuid_64e31ba96c3792fe:
	.byte	0                               ; 0x0
	.size	__hip_cuid_64e31ba96c3792fe, 1

	.ident	"AMD clang version 19.0.0git (https://github.com/RadeonOpenCompute/llvm-project roc-6.4.0 25133 c7fe45cf4b819c5991fe208aaa96edf142730f1d)"
	.section	".note.GNU-stack","",@progbits
	.addrsig
	.addrsig_sym __hip_cuid_64e31ba96c3792fe
	.amdgpu_metadata
---
amdhsa.kernels:
  - .agpr_count:     82
    .args:
      - .actual_access:  read_only
        .address_space:  global
        .offset:         0
        .size:           8
        .value_kind:     global_buffer
      - .actual_access:  read_only
        .address_space:  global
        .offset:         8
        .size:           8
        .value_kind:     global_buffer
      - .actual_access:  read_only
        .address_space:  global
        .offset:         16
        .size:           8
        .value_kind:     global_buffer
      - .actual_access:  read_only
        .address_space:  global
        .offset:         24
        .size:           8
        .value_kind:     global_buffer
      - .actual_access:  read_only
        .address_space:  global
        .offset:         32
        .size:           8
        .value_kind:     global_buffer
      - .offset:         40
        .size:           8
        .value_kind:     by_value
      - .address_space:  global
        .offset:         48
        .size:           8
        .value_kind:     global_buffer
      - .address_space:  global
        .offset:         56
        .size:           8
        .value_kind:     global_buffer
      - .address_space:  global
        .offset:         64
        .size:           8
        .value_kind:     global_buffer
      - .address_space:  global
        .offset:         72
        .size:           8
        .value_kind:     global_buffer
      - .offset:         80
        .size:           4
        .value_kind:     by_value
      - .address_space:  global
        .offset:         88
        .size:           8
        .value_kind:     global_buffer
      - .address_space:  global
        .offset:         96
        .size:           8
        .value_kind:     global_buffer
    .group_segment_fixed_size: 27664
    .kernarg_segment_align: 8
    .kernarg_segment_size: 104
    .language:       OpenCL C
    .language_version:
      - 2
      - 0
    .max_flat_workgroup_size: 247
    .name:           bluestein_single_fwd_len91_dim1_dp_op_CI_CI
    .private_segment_fixed_size: 0
    .sgpr_count:     48
    .sgpr_spill_count: 0
    .symbol:         bluestein_single_fwd_len91_dim1_dp_op_CI_CI.kd
    .uniform_work_group_size: 1
    .uses_dynamic_stack: false
    .vgpr_count:     338
    .vgpr_spill_count: 0
    .wavefront_size: 64
amdhsa.target:   amdgcn-amd-amdhsa--gfx950
amdhsa.version:
  - 1
  - 2
...

	.end_amdgpu_metadata
